;; amdgpu-corpus repo=ROCm/rocSOLVER kind=compiled arch=gfx1250 opt=O3
	.amdgcn_target "amdgcn-amd-amdhsa--gfx1250"
	.amdhsa_code_object_version 6
	.section	.text._ZN9rocsolver6v33100L10reset_infoIiiiEEvPT_T0_T1_S4_,"axG",@progbits,_ZN9rocsolver6v33100L10reset_infoIiiiEEvPT_T0_T1_S4_,comdat
	.globl	_ZN9rocsolver6v33100L10reset_infoIiiiEEvPT_T0_T1_S4_ ; -- Begin function _ZN9rocsolver6v33100L10reset_infoIiiiEEvPT_T0_T1_S4_
	.p2align	8
	.type	_ZN9rocsolver6v33100L10reset_infoIiiiEEvPT_T0_T1_S4_,@function
_ZN9rocsolver6v33100L10reset_infoIiiiEEvPT_T0_T1_S4_: ; @_ZN9rocsolver6v33100L10reset_infoIiiiEEvPT_T0_T1_S4_
; %bb.0:
	s_clause 0x1
	s_load_b32 s2, s[0:1], 0x24
	s_load_b96 s[4:6], s[0:1], 0x8
	s_bfe_u32 s3, ttmp6, 0x4000c
	s_and_b32 s7, ttmp6, 15
	s_add_co_i32 s3, s3, 1
	s_getreg_b32 s8, hwreg(HW_REG_IB_STS2, 6, 4)
	s_mul_i32 s3, ttmp9, s3
	s_delay_alu instid0(SALU_CYCLE_1) | instskip(SKIP_4) | instid1(SALU_CYCLE_1)
	s_add_co_i32 s7, s7, s3
	s_wait_kmcnt 0x0
	s_and_b32 s2, s2, 0xffff
	s_cmp_eq_u32 s8, 0
	s_cselect_b32 s3, ttmp9, s7
	v_mad_u32 v0, s3, s2, v0
	s_mov_b32 s2, exec_lo
	s_delay_alu instid0(VALU_DEP_1)
	v_cmpx_gt_i32_e64 s4, v0
	s_cbranch_execz .LBB0_2
; %bb.1:
	s_load_b64 s[0:1], s[0:1], 0x0
	v_mad_u32 v1, v0, s6, s5
	s_wait_kmcnt 0x0
	global_store_b32 v0, v1, s[0:1] scale_offset
.LBB0_2:
	s_endpgm
	.section	.rodata,"a",@progbits
	.p2align	6, 0x0
	.amdhsa_kernel _ZN9rocsolver6v33100L10reset_infoIiiiEEvPT_T0_T1_S4_
		.amdhsa_group_segment_fixed_size 0
		.amdhsa_private_segment_fixed_size 0
		.amdhsa_kernarg_size 280
		.amdhsa_user_sgpr_count 2
		.amdhsa_user_sgpr_dispatch_ptr 0
		.amdhsa_user_sgpr_queue_ptr 0
		.amdhsa_user_sgpr_kernarg_segment_ptr 1
		.amdhsa_user_sgpr_dispatch_id 0
		.amdhsa_user_sgpr_kernarg_preload_length 0
		.amdhsa_user_sgpr_kernarg_preload_offset 0
		.amdhsa_user_sgpr_private_segment_size 0
		.amdhsa_wavefront_size32 1
		.amdhsa_uses_dynamic_stack 0
		.amdhsa_enable_private_segment 0
		.amdhsa_system_sgpr_workgroup_id_x 1
		.amdhsa_system_sgpr_workgroup_id_y 0
		.amdhsa_system_sgpr_workgroup_id_z 0
		.amdhsa_system_sgpr_workgroup_info 0
		.amdhsa_system_vgpr_workitem_id 0
		.amdhsa_next_free_vgpr 2
		.amdhsa_next_free_sgpr 9
		.amdhsa_named_barrier_count 0
		.amdhsa_reserve_vcc 0
		.amdhsa_float_round_mode_32 0
		.amdhsa_float_round_mode_16_64 0
		.amdhsa_float_denorm_mode_32 3
		.amdhsa_float_denorm_mode_16_64 3
		.amdhsa_fp16_overflow 0
		.amdhsa_memory_ordered 1
		.amdhsa_forward_progress 1
		.amdhsa_inst_pref_size 2
		.amdhsa_round_robin_scheduling 0
		.amdhsa_exception_fp_ieee_invalid_op 0
		.amdhsa_exception_fp_denorm_src 0
		.amdhsa_exception_fp_ieee_div_zero 0
		.amdhsa_exception_fp_ieee_overflow 0
		.amdhsa_exception_fp_ieee_underflow 0
		.amdhsa_exception_fp_ieee_inexact 0
		.amdhsa_exception_int_div_zero 0
	.end_amdhsa_kernel
	.section	.text._ZN9rocsolver6v33100L10reset_infoIiiiEEvPT_T0_T1_S4_,"axG",@progbits,_ZN9rocsolver6v33100L10reset_infoIiiiEEvPT_T0_T1_S4_,comdat
.Lfunc_end0:
	.size	_ZN9rocsolver6v33100L10reset_infoIiiiEEvPT_T0_T1_S4_, .Lfunc_end0-_ZN9rocsolver6v33100L10reset_infoIiiiEEvPT_T0_T1_S4_
                                        ; -- End function
	.set _ZN9rocsolver6v33100L10reset_infoIiiiEEvPT_T0_T1_S4_.num_vgpr, 2
	.set _ZN9rocsolver6v33100L10reset_infoIiiiEEvPT_T0_T1_S4_.num_agpr, 0
	.set _ZN9rocsolver6v33100L10reset_infoIiiiEEvPT_T0_T1_S4_.numbered_sgpr, 9
	.set _ZN9rocsolver6v33100L10reset_infoIiiiEEvPT_T0_T1_S4_.num_named_barrier, 0
	.set _ZN9rocsolver6v33100L10reset_infoIiiiEEvPT_T0_T1_S4_.private_seg_size, 0
	.set _ZN9rocsolver6v33100L10reset_infoIiiiEEvPT_T0_T1_S4_.uses_vcc, 0
	.set _ZN9rocsolver6v33100L10reset_infoIiiiEEvPT_T0_T1_S4_.uses_flat_scratch, 0
	.set _ZN9rocsolver6v33100L10reset_infoIiiiEEvPT_T0_T1_S4_.has_dyn_sized_stack, 0
	.set _ZN9rocsolver6v33100L10reset_infoIiiiEEvPT_T0_T1_S4_.has_recursion, 0
	.set _ZN9rocsolver6v33100L10reset_infoIiiiEEvPT_T0_T1_S4_.has_indirect_call, 0
	.section	.AMDGPU.csdata,"",@progbits
; Kernel info:
; codeLenInByte = 136
; TotalNumSgprs: 9
; NumVgprs: 2
; ScratchSize: 0
; MemoryBound: 0
; FloatMode: 240
; IeeeMode: 1
; LDSByteSize: 0 bytes/workgroup (compile time only)
; SGPRBlocks: 0
; VGPRBlocks: 0
; NumSGPRsForWavesPerEU: 9
; NumVGPRsForWavesPerEU: 2
; NamedBarCnt: 0
; Occupancy: 16
; WaveLimiterHint : 0
; COMPUTE_PGM_RSRC2:SCRATCH_EN: 0
; COMPUTE_PGM_RSRC2:USER_SGPR: 2
; COMPUTE_PGM_RSRC2:TRAP_HANDLER: 0
; COMPUTE_PGM_RSRC2:TGID_X_EN: 1
; COMPUTE_PGM_RSRC2:TGID_Y_EN: 0
; COMPUTE_PGM_RSRC2:TGID_Z_EN: 0
; COMPUTE_PGM_RSRC2:TIDIG_COMP_CNT: 0
	.section	.text._ZN9rocsolver6v33100L16reset_batch_infoIfiiPfEEvT2_lT0_T1_,"axG",@progbits,_ZN9rocsolver6v33100L16reset_batch_infoIfiiPfEEvT2_lT0_T1_,comdat
	.globl	_ZN9rocsolver6v33100L16reset_batch_infoIfiiPfEEvT2_lT0_T1_ ; -- Begin function _ZN9rocsolver6v33100L16reset_batch_infoIfiiPfEEvT2_lT0_T1_
	.p2align	8
	.type	_ZN9rocsolver6v33100L16reset_batch_infoIfiiPfEEvT2_lT0_T1_,@function
_ZN9rocsolver6v33100L16reset_batch_infoIfiiPfEEvT2_lT0_T1_: ; @_ZN9rocsolver6v33100L16reset_batch_infoIfiiPfEEvT2_lT0_T1_
; %bb.0:
	s_clause 0x1
	s_load_b32 s5, s[0:1], 0x24
	s_load_b64 s[2:3], s[0:1], 0x10
	s_bfe_u32 s4, ttmp6, 0x4000c
	s_and_b32 s6, ttmp6, 15
	s_add_co_i32 s7, s4, 1
	s_getreg_b32 s4, hwreg(HW_REG_IB_STS2, 6, 4)
	s_mul_i32 s7, ttmp9, s7
	s_delay_alu instid0(SALU_CYCLE_1) | instskip(SKIP_4) | instid1(SALU_CYCLE_1)
	s_add_co_i32 s6, s6, s7
	s_wait_kmcnt 0x0
	s_and_b32 s5, s5, 0xffff
	s_cmp_eq_u32 s4, 0
	s_cselect_b32 s6, ttmp9, s6
	v_mad_u32 v0, s6, s5, v0
	s_delay_alu instid0(VALU_DEP_1)
	v_cmp_gt_i32_e32 vcc_lo, s2, v0
	s_and_saveexec_b32 s2, vcc_lo
	s_cbranch_execz .LBB1_2
; %bb.1:
	s_load_b128 s[8:11], s[0:1], 0x0
	s_wait_xcnt 0x0
	s_bfe_u32 s0, ttmp6, 0x40010
	s_bfe_u32 s1, ttmp6, 0x40004
	s_add_co_i32 s0, s0, 1
	s_cvt_f32_i32 s2, s3
	s_mul_i32 s0, ttmp7, s0
	s_delay_alu instid0(SALU_CYCLE_1) | instskip(SKIP_3) | instid1(SALU_CYCLE_1)
	s_add_co_i32 s1, s1, s0
	s_cmp_eq_u32 s4, 0
	v_mov_b32_e32 v1, s2
	s_cselect_b32 s0, ttmp7, s1
	s_ashr_i32 s1, s0, 31
	s_wait_kmcnt 0x0
	s_mul_u64 s[0:1], s[10:11], s[0:1]
	s_delay_alu instid0(SALU_CYCLE_1) | instskip(NEXT) | instid1(SALU_CYCLE_1)
	s_lshl_b64 s[0:1], s[0:1], 2
	s_add_nc_u64 s[0:1], s[8:9], s[0:1]
	global_store_b32 v0, v1, s[0:1] scale_offset
.LBB1_2:
	s_endpgm
	.section	.rodata,"a",@progbits
	.p2align	6, 0x0
	.amdhsa_kernel _ZN9rocsolver6v33100L16reset_batch_infoIfiiPfEEvT2_lT0_T1_
		.amdhsa_group_segment_fixed_size 0
		.amdhsa_private_segment_fixed_size 0
		.amdhsa_kernarg_size 280
		.amdhsa_user_sgpr_count 2
		.amdhsa_user_sgpr_dispatch_ptr 0
		.amdhsa_user_sgpr_queue_ptr 0
		.amdhsa_user_sgpr_kernarg_segment_ptr 1
		.amdhsa_user_sgpr_dispatch_id 0
		.amdhsa_user_sgpr_kernarg_preload_length 0
		.amdhsa_user_sgpr_kernarg_preload_offset 0
		.amdhsa_user_sgpr_private_segment_size 0
		.amdhsa_wavefront_size32 1
		.amdhsa_uses_dynamic_stack 0
		.amdhsa_enable_private_segment 0
		.amdhsa_system_sgpr_workgroup_id_x 1
		.amdhsa_system_sgpr_workgroup_id_y 1
		.amdhsa_system_sgpr_workgroup_id_z 0
		.amdhsa_system_sgpr_workgroup_info 0
		.amdhsa_system_vgpr_workitem_id 0
		.amdhsa_next_free_vgpr 2
		.amdhsa_next_free_sgpr 12
		.amdhsa_named_barrier_count 0
		.amdhsa_reserve_vcc 1
		.amdhsa_float_round_mode_32 0
		.amdhsa_float_round_mode_16_64 0
		.amdhsa_float_denorm_mode_32 3
		.amdhsa_float_denorm_mode_16_64 3
		.amdhsa_fp16_overflow 0
		.amdhsa_memory_ordered 1
		.amdhsa_forward_progress 1
		.amdhsa_inst_pref_size 2
		.amdhsa_round_robin_scheduling 0
		.amdhsa_exception_fp_ieee_invalid_op 0
		.amdhsa_exception_fp_denorm_src 0
		.amdhsa_exception_fp_ieee_div_zero 0
		.amdhsa_exception_fp_ieee_overflow 0
		.amdhsa_exception_fp_ieee_underflow 0
		.amdhsa_exception_fp_ieee_inexact 0
		.amdhsa_exception_int_div_zero 0
	.end_amdhsa_kernel
	.section	.text._ZN9rocsolver6v33100L16reset_batch_infoIfiiPfEEvT2_lT0_T1_,"axG",@progbits,_ZN9rocsolver6v33100L16reset_batch_infoIfiiPfEEvT2_lT0_T1_,comdat
.Lfunc_end1:
	.size	_ZN9rocsolver6v33100L16reset_batch_infoIfiiPfEEvT2_lT0_T1_, .Lfunc_end1-_ZN9rocsolver6v33100L16reset_batch_infoIfiiPfEEvT2_lT0_T1_
                                        ; -- End function
	.set _ZN9rocsolver6v33100L16reset_batch_infoIfiiPfEEvT2_lT0_T1_.num_vgpr, 2
	.set _ZN9rocsolver6v33100L16reset_batch_infoIfiiPfEEvT2_lT0_T1_.num_agpr, 0
	.set _ZN9rocsolver6v33100L16reset_batch_infoIfiiPfEEvT2_lT0_T1_.numbered_sgpr, 12
	.set _ZN9rocsolver6v33100L16reset_batch_infoIfiiPfEEvT2_lT0_T1_.num_named_barrier, 0
	.set _ZN9rocsolver6v33100L16reset_batch_infoIfiiPfEEvT2_lT0_T1_.private_seg_size, 0
	.set _ZN9rocsolver6v33100L16reset_batch_infoIfiiPfEEvT2_lT0_T1_.uses_vcc, 1
	.set _ZN9rocsolver6v33100L16reset_batch_infoIfiiPfEEvT2_lT0_T1_.uses_flat_scratch, 0
	.set _ZN9rocsolver6v33100L16reset_batch_infoIfiiPfEEvT2_lT0_T1_.has_dyn_sized_stack, 0
	.set _ZN9rocsolver6v33100L16reset_batch_infoIfiiPfEEvT2_lT0_T1_.has_recursion, 0
	.set _ZN9rocsolver6v33100L16reset_batch_infoIfiiPfEEvT2_lT0_T1_.has_indirect_call, 0
	.section	.AMDGPU.csdata,"",@progbits
; Kernel info:
; codeLenInByte = 196
; TotalNumSgprs: 14
; NumVgprs: 2
; ScratchSize: 0
; MemoryBound: 0
; FloatMode: 240
; IeeeMode: 1
; LDSByteSize: 0 bytes/workgroup (compile time only)
; SGPRBlocks: 0
; VGPRBlocks: 0
; NumSGPRsForWavesPerEU: 14
; NumVGPRsForWavesPerEU: 2
; NamedBarCnt: 0
; Occupancy: 16
; WaveLimiterHint : 0
; COMPUTE_PGM_RSRC2:SCRATCH_EN: 0
; COMPUTE_PGM_RSRC2:USER_SGPR: 2
; COMPUTE_PGM_RSRC2:TRAP_HANDLER: 0
; COMPUTE_PGM_RSRC2:TGID_X_EN: 1
; COMPUTE_PGM_RSRC2:TGID_Y_EN: 1
; COMPUTE_PGM_RSRC2:TGID_Z_EN: 0
; COMPUTE_PGM_RSRC2:TIDIG_COMP_CNT: 0
	.section	.text._ZN9rocsolver6v33100L10init_identIfPfEEviiT0_iil,"axG",@progbits,_ZN9rocsolver6v33100L10init_identIfPfEEviiT0_iil,comdat
	.globl	_ZN9rocsolver6v33100L10init_identIfPfEEviiT0_iil ; -- Begin function _ZN9rocsolver6v33100L10init_identIfPfEEviiT0_iil
	.p2align	8
	.type	_ZN9rocsolver6v33100L10init_identIfPfEEviiT0_iil,@function
_ZN9rocsolver6v33100L10init_identIfPfEEviiT0_iil: ; @_ZN9rocsolver6v33100L10init_identIfPfEEviiT0_iil
; %bb.0:
	s_clause 0x1
	s_load_b32 s5, s[0:1], 0x2c
	s_load_b64 s[2:3], s[0:1], 0x0
	s_bfe_u32 s7, ttmp6, 0x40010
	s_bfe_u32 s10, ttmp6, 0x4000c
	s_and_b32 s6, ttmp7, 0xffff
	s_add_co_i32 s7, s7, 1
	s_add_co_i32 s10, s10, 1
	s_bfe_u32 s8, ttmp6, 0x40004
	s_and_b32 s9, ttmp6, 15
	s_mul_i32 s7, s6, s7
	s_mul_i32 s10, ttmp9, s10
	s_getreg_b32 s4, hwreg(HW_REG_IB_STS2, 6, 4)
	v_and_b32_e32 v1, 0x3ff, v0
	v_bfe_u32 v0, v0, 10, 10
	s_add_co_i32 s8, s8, s7
	s_add_co_i32 s9, s9, s10
	s_wait_kmcnt 0x0
	s_lshr_b32 s7, s5, 16
	s_and_b32 s5, s5, 0xffff
	s_cmp_eq_u32 s4, 0
	s_cselect_b32 s9, ttmp9, s9
	s_cselect_b32 s6, s6, s8
	v_mad_u32 v2, s9, s5, v1
	v_mad_u32 v1, s6, s7, v0
	s_delay_alu instid0(VALU_DEP_2) | instskip(NEXT) | instid1(VALU_DEP_2)
	v_cmp_gt_u32_e32 vcc_lo, s2, v2
	v_cmp_gt_u32_e64 s2, s3, v1
	s_and_b32 s2, vcc_lo, s2
	s_delay_alu instid0(SALU_CYCLE_1)
	s_and_saveexec_b32 s3, s2
	s_cbranch_execz .LBB2_6
; %bb.1:
	s_load_b64 s[2:3], s[0:1], 0x10
	s_mov_b32 s5, exec_lo
                                        ; implicit-def: $vgpr0
	v_cmpx_ne_u32_e64 v2, v1
	s_xor_b32 s5, exec_lo, s5
	s_cbranch_execz .LBB2_3
; %bb.2:
	s_wait_kmcnt 0x0
	v_mad_u32 v0, v1, s3, v2
                                        ; implicit-def: $vgpr2
.LBB2_3:
	s_or_saveexec_b32 s5, s5
	v_mov_b32_e32 v1, 0
	s_xor_b32 exec_lo, exec_lo, s5
	s_cbranch_execz .LBB2_5
; %bb.4:
	s_wait_kmcnt 0x0
	v_mad_u32 v0, v2, s3, v2
	v_mov_b32_e32 v1, 1.0
.LBB2_5:
	s_or_b32 exec_lo, exec_lo, s5
	s_clause 0x1
	s_load_b64 s[6:7], s[0:1], 0x18
	s_load_b64 s[8:9], s[0:1], 0x8
	s_wait_xcnt 0x0
	s_bfe_u32 s0, ttmp6, 0x40014
	s_lshr_b32 s5, ttmp7, 16
	s_add_co_i32 s0, s0, 1
	s_bfe_u32 s1, ttmp6, 0x40008
	s_mul_i32 s0, s5, s0
	s_wait_kmcnt 0x0
	s_ashr_i32 s3, s2, 31
	s_add_co_i32 s0, s1, s0
	s_cmp_eq_u32 s4, 0
	s_mov_b32 s1, 0
	s_cselect_b32 s0, s5, s0
	s_lshl_b64 s[2:3], s[2:3], 2
	s_mul_u64 s[0:1], s[6:7], s[0:1]
	s_delay_alu instid0(SALU_CYCLE_1) | instskip(NEXT) | instid1(SALU_CYCLE_1)
	s_lshl_b64 s[0:1], s[0:1], 2
	s_add_nc_u64 s[0:1], s[8:9], s[0:1]
	s_delay_alu instid0(SALU_CYCLE_1)
	s_add_nc_u64 s[0:1], s[0:1], s[2:3]
	global_store_b32 v0, v1, s[0:1] scale_offset
.LBB2_6:
	s_endpgm
	.section	.rodata,"a",@progbits
	.p2align	6, 0x0
	.amdhsa_kernel _ZN9rocsolver6v33100L10init_identIfPfEEviiT0_iil
		.amdhsa_group_segment_fixed_size 0
		.amdhsa_private_segment_fixed_size 0
		.amdhsa_kernarg_size 288
		.amdhsa_user_sgpr_count 2
		.amdhsa_user_sgpr_dispatch_ptr 0
		.amdhsa_user_sgpr_queue_ptr 0
		.amdhsa_user_sgpr_kernarg_segment_ptr 1
		.amdhsa_user_sgpr_dispatch_id 0
		.amdhsa_user_sgpr_kernarg_preload_length 0
		.amdhsa_user_sgpr_kernarg_preload_offset 0
		.amdhsa_user_sgpr_private_segment_size 0
		.amdhsa_wavefront_size32 1
		.amdhsa_uses_dynamic_stack 0
		.amdhsa_enable_private_segment 0
		.amdhsa_system_sgpr_workgroup_id_x 1
		.amdhsa_system_sgpr_workgroup_id_y 1
		.amdhsa_system_sgpr_workgroup_id_z 1
		.amdhsa_system_sgpr_workgroup_info 0
		.amdhsa_system_vgpr_workitem_id 1
		.amdhsa_next_free_vgpr 3
		.amdhsa_next_free_sgpr 11
		.amdhsa_named_barrier_count 0
		.amdhsa_reserve_vcc 1
		.amdhsa_float_round_mode_32 0
		.amdhsa_float_round_mode_16_64 0
		.amdhsa_float_denorm_mode_32 3
		.amdhsa_float_denorm_mode_16_64 3
		.amdhsa_fp16_overflow 0
		.amdhsa_memory_ordered 1
		.amdhsa_forward_progress 1
		.amdhsa_inst_pref_size 3
		.amdhsa_round_robin_scheduling 0
		.amdhsa_exception_fp_ieee_invalid_op 0
		.amdhsa_exception_fp_denorm_src 0
		.amdhsa_exception_fp_ieee_div_zero 0
		.amdhsa_exception_fp_ieee_overflow 0
		.amdhsa_exception_fp_ieee_underflow 0
		.amdhsa_exception_fp_ieee_inexact 0
		.amdhsa_exception_int_div_zero 0
	.end_amdhsa_kernel
	.section	.text._ZN9rocsolver6v33100L10init_identIfPfEEviiT0_iil,"axG",@progbits,_ZN9rocsolver6v33100L10init_identIfPfEEviiT0_iil,comdat
.Lfunc_end2:
	.size	_ZN9rocsolver6v33100L10init_identIfPfEEviiT0_iil, .Lfunc_end2-_ZN9rocsolver6v33100L10init_identIfPfEEviiT0_iil
                                        ; -- End function
	.set _ZN9rocsolver6v33100L10init_identIfPfEEviiT0_iil.num_vgpr, 3
	.set _ZN9rocsolver6v33100L10init_identIfPfEEviiT0_iil.num_agpr, 0
	.set _ZN9rocsolver6v33100L10init_identIfPfEEviiT0_iil.numbered_sgpr, 11
	.set _ZN9rocsolver6v33100L10init_identIfPfEEviiT0_iil.num_named_barrier, 0
	.set _ZN9rocsolver6v33100L10init_identIfPfEEviiT0_iil.private_seg_size, 0
	.set _ZN9rocsolver6v33100L10init_identIfPfEEviiT0_iil.uses_vcc, 1
	.set _ZN9rocsolver6v33100L10init_identIfPfEEviiT0_iil.uses_flat_scratch, 0
	.set _ZN9rocsolver6v33100L10init_identIfPfEEviiT0_iil.has_dyn_sized_stack, 0
	.set _ZN9rocsolver6v33100L10init_identIfPfEEviiT0_iil.has_recursion, 0
	.set _ZN9rocsolver6v33100L10init_identIfPfEEviiT0_iil.has_indirect_call, 0
	.section	.AMDGPU.csdata,"",@progbits
; Kernel info:
; codeLenInByte = 372
; TotalNumSgprs: 13
; NumVgprs: 3
; ScratchSize: 0
; MemoryBound: 0
; FloatMode: 240
; IeeeMode: 1
; LDSByteSize: 0 bytes/workgroup (compile time only)
; SGPRBlocks: 0
; VGPRBlocks: 0
; NumSGPRsForWavesPerEU: 13
; NumVGPRsForWavesPerEU: 3
; NamedBarCnt: 0
; Occupancy: 16
; WaveLimiterHint : 0
; COMPUTE_PGM_RSRC2:SCRATCH_EN: 0
; COMPUTE_PGM_RSRC2:USER_SGPR: 2
; COMPUTE_PGM_RSRC2:TRAP_HANDLER: 0
; COMPUTE_PGM_RSRC2:TGID_X_EN: 1
; COMPUTE_PGM_RSRC2:TGID_Y_EN: 1
; COMPUTE_PGM_RSRC2:TGID_Z_EN: 1
; COMPUTE_PGM_RSRC2:TIDIG_COMP_CNT: 1
	.section	.text._ZN9rocsolver6v33100L12sterf_kernelIfEEviPT_lS3_lPiS4_iS2_S2_S2_,"axG",@progbits,_ZN9rocsolver6v33100L12sterf_kernelIfEEviPT_lS3_lPiS4_iS2_S2_S2_,comdat
	.globl	_ZN9rocsolver6v33100L12sterf_kernelIfEEviPT_lS3_lPiS4_iS2_S2_S2_ ; -- Begin function _ZN9rocsolver6v33100L12sterf_kernelIfEEviPT_lS3_lPiS4_iS2_S2_S2_
	.p2align	8
	.type	_ZN9rocsolver6v33100L12sterf_kernelIfEEviPT_lS3_lPiS4_iS2_S2_S2_,@function
_ZN9rocsolver6v33100L12sterf_kernelIfEEviPT_lS3_lPiS4_iS2_S2_S2_: ; @_ZN9rocsolver6v33100L12sterf_kernelIfEEviPT_lS3_lPiS4_iS2_S2_S2_
; %bb.0:
	s_clause 0x2
	s_load_b256 s[4:11], s[0:1], 0x8
	s_load_b32 s33, s[0:1], 0x0
	s_load_b128 s[12:15], s[0:1], 0x38
	s_bfe_u32 s2, ttmp6, 0x4000c
	s_and_b32 s3, ttmp6, 15
	s_add_co_i32 s2, s2, 1
	s_getreg_b32 s16, hwreg(HW_REG_IB_STS2, 6, 4)
	s_mul_i32 s2, ttmp9, s2
	s_mov_b32 s52, 0
	s_add_co_i32 s3, s3, s2
	s_cmp_eq_u32 s16, 0
	s_cselect_b32 s16, ttmp9, s3
	s_delay_alu instid0(SALU_CYCLE_1)
	s_ashr_i32 s17, s16, 31
	s_wait_kmcnt 0x0
	s_mul_u64 s[2:3], s[6:7], s[16:17]
	s_mul_u64 s[6:7], s[10:11], s[16:17]
	s_min_i32 s18, s33, s12
	s_lshl_b64 s[10:11], s[2:3], 2
	s_lshl_b64 s[2:3], s[6:7], 2
	s_cmp_lt_i32 s18, 1
	s_add_nc_u64 s[6:7], s[4:5], s[10:11]
	s_add_nc_u64 s[10:11], s[8:9], s[2:3]
	s_cbranch_scc1 .LBB3_158
; %bb.1:
	v_mov_b64_e32 v[0:1], 0xbf0000003f000000
	v_mov_b32_e32 v10, 0
	s_mul_f32 s51, s13, s13
	s_add_nc_u64 s[8:9], s[8:9], s[2:3]
	s_add_co_i32 s50, s33, -1
	s_add_nc_u64 s[18:19], s[8:9], -4
	s_add_nc_u64 s[20:21], s[6:7], 4
	s_add_nc_u64 s[22:23], s[8:9], 4
	s_mov_b32 s53, 0
	s_branch .LBB3_3
.LBB3_2:                                ;   in Loop: Header=BB3_3 Depth=1
	s_and_not1_b32 vcc_lo, exec_lo, s2
	s_cbranch_vccz .LBB3_27
.LBB3_3:                                ; =>This Loop Header: Depth=1
                                        ;     Child Loop BB3_8 Depth 2
                                        ;     Child Loop BB3_17 Depth 2
	;; [unrolled: 1-line block ×8, first 2 shown]
                                        ;       Child Loop BB3_59 Depth 3
                                        ;       Child Loop BB3_71 Depth 3
                                        ;     Child Loop BB3_114 Depth 2
                                        ;       Child Loop BB3_117 Depth 3
                                        ;       Child Loop BB3_129 Depth 3
                                        ;     Child Loop BB3_105 Depth 2
                                        ;     Child Loop BB3_109 Depth 2
	s_mov_b32 s24, s52
	s_cmp_lt_i32 s52, 1
	s_cbranch_scc1 .LBB3_5
; %bb.4:                                ;   in Loop: Header=BB3_3 Depth=1
	s_wait_xcnt 0x0
	v_mov_b32_e32 v2, s24
	global_store_b32 v2, v10, s[10:11] offset:-4 scale_offset
.LBB3_5:                                ;   in Loop: Header=BB3_3 Depth=1
	s_ashr_i32 s25, s24, 31
	s_mov_b32 s26, s24
	s_lshl_b64 s[28:29], s[24:25], 2
	s_delay_alu instid0(SALU_CYCLE_1)
	s_add_nc_u64 s[2:3], s[18:19], s[28:29]
	s_wait_xcnt 0x0
	s_add_nc_u64 s[4:5], s[20:21], s[28:29]
	s_mov_b32 s27, -1
	s_cmp_ge_i32 s26, s50
	s_mov_b32 s30, -1
                                        ; implicit-def: $sgpr52
	s_cbranch_scc1 .LBB3_8
	s_branch .LBB3_7
.LBB3_6:                                ;   in Loop: Header=BB3_8 Depth=2
	s_mov_b32 s26, s52
	s_mov_b32 s27, -1
	s_cmp_ge_i32 s26, s50
	s_mov_b32 s30, -1
                                        ; implicit-def: $sgpr52
	s_cbranch_scc1 .LBB3_8
.LBB3_7:                                ;   in Loop: Header=BB3_3 Depth=1
	s_clause 0x1
	global_load_b64 v[2:3], v10, s[4:5] offset:-4
	global_load_b32 v4, v10, s[2:3] offset:4
	s_wait_xcnt 0x0
	s_add_nc_u64 s[2:3], s[2:3], 4
	s_add_nc_u64 s[4:5], s[4:5], 4
	s_wait_loadcnt 0x1
	v_readfirstlane_b32 s27, v3
	s_bitset0_b32 s27, 31
	s_delay_alu instid0(SALU_CYCLE_1) | instskip(SKIP_1) | instid1(SALU_CYCLE_2)
	s_mul_f32 s30, s27, 0x4f800000
	s_cmp_lt_f32 s27, 0xf800000
	s_cselect_b32 s30, s30, s27
	s_delay_alu instid0(SALU_CYCLE_1) | instskip(SKIP_1) | instid1(TRANS32_DEP_1)
	v_s_sqrt_f32 s31, s30
	s_mov_b32 s35, s30
	s_add_co_i32 s34, s31, -1
	s_delay_alu instid0(SALU_CYCLE_1) | instskip(NEXT) | instid1(SALU_CYCLE_1)
	s_xor_b32 s36, s34, 0x80000000
	s_fmac_f32 s35, s36, s31
	s_mov_b32 s36, s30
	s_delay_alu instid0(SALU_CYCLE_2) | instskip(SKIP_2) | instid1(SALU_CYCLE_1)
	s_cmp_le_f32 s35, 0
	s_cselect_b32 s34, s34, s31
	s_add_co_i32 s35, s31, 1
	s_xor_b32 s37, s35, 0x80000000
	s_delay_alu instid0(SALU_CYCLE_1)
	s_fmac_f32 s36, s37, s31
	v_readfirstlane_b32 s31, v2
	s_wait_loadcnt 0x0
	v_and_b32_e32 v2, 0x7fffffff, v4
	s_cmp_gt_f32 s36, 0
	s_cselect_b32 s34, s35, s34
	s_cmp_lt_f32 s27, 0xf800000
	s_mul_f32 s27, s34, 0x37800000
	s_delay_alu instid0(SALU_CYCLE_3) | instskip(SKIP_1) | instid1(SALU_CYCLE_1)
	s_cselect_b32 s27, s27, s34
	s_bitset0_b32 s31, 31
	s_mul_f32 s34, s31, 0x4f800000
	s_cmp_lt_f32 s31, 0xf800000
	s_delay_alu instid0(SALU_CYCLE_2) | instskip(NEXT) | instid1(SALU_CYCLE_1)
	s_cselect_b32 s34, s34, s31
	v_s_sqrt_f32 s35, s34
	s_mov_b32 s37, s34
	s_delay_alu instid0(TRANS32_DEP_1) | instskip(NEXT) | instid1(SALU_CYCLE_1)
	s_add_co_i32 s36, s35, -1
	s_xor_b32 s38, s36, 0x80000000
	s_delay_alu instid0(SALU_CYCLE_1) | instskip(SKIP_1) | instid1(SALU_CYCLE_2)
	s_fmac_f32 s37, s38, s35
	s_mov_b32 s38, s34
	s_cmp_le_f32 s37, 0
	s_cselect_b32 s36, s36, s35
	s_add_co_i32 s37, s35, 1
	s_delay_alu instid0(SALU_CYCLE_1) | instskip(NEXT) | instid1(SALU_CYCLE_1)
	s_xor_b32 s39, s37, 0x80000000
	s_fmac_f32 s38, s39, s35
	v_cmp_class_f32_e64 s35, s34, 0x260
	s_delay_alu instid0(SALU_CYCLE_2) | instskip(SKIP_4) | instid1(SALU_CYCLE_2)
	s_cmp_gt_f32 s38, 0
	s_cselect_b32 s36, s37, s36
	s_cmp_lt_f32 s31, 0xf800000
	s_mul_f32 s31, s36, 0x37800000
	v_cmp_class_f32_e64 s37, s30, 0x260
	s_cselect_b32 s31, s31, s36
	s_and_b32 s35, s35, exec_lo
	s_cselect_b32 s31, s34, s31
	s_add_co_i32 s52, s26, 1
	s_and_b32 s34, s37, exec_lo
	s_cselect_b32 s27, s30, s27
	s_delay_alu instid0(SALU_CYCLE_1) | instskip(NEXT) | instid1(SALU_CYCLE_3)
	s_mul_f32 s27, s31, s27
	s_mul_f32 s27, s13, s27
	s_delay_alu instid0(SALU_CYCLE_3)
	v_cmp_ge_f32_e64 s30, s27, v2
	s_mov_b32 s27, 0
.LBB3_8:                                ;   Parent Loop BB3_3 Depth=1
                                        ; =>  This Inner Loop Header: Depth=2
	s_and_not1_b32 vcc_lo, exec_lo, s30
	s_cbranch_vccnz .LBB3_6
; %bb.9:                                ;   in Loop: Header=BB3_3 Depth=1
	s_and_not1_b32 vcc_lo, exec_lo, s27
	s_mov_b32 s4, -1
	s_cbranch_vccz .LBB3_11
; %bb.10:                               ;   in Loop: Header=BB3_3 Depth=1
	global_store_b32 v10, v10, s[2:3]
	s_cbranch_execnz .LBB3_13
	s_branch .LBB3_12
.LBB3_11:                               ;   in Loop: Header=BB3_3 Depth=1
	s_and_not1_b32 vcc_lo, exec_lo, s4
	s_cbranch_vccnz .LBB3_13
.LBB3_12:                               ;   in Loop: Header=BB3_3 Depth=1
	s_max_i32 s26, s24, s50
	s_delay_alu instid0(SALU_CYCLE_1)
	s_add_co_i32 s52, s26, 1
.LBB3_13:                               ;   in Loop: Header=BB3_3 Depth=1
	s_mov_b32 s35, -1
	s_cmp_lg_u32 s26, s24
	s_wait_xcnt 0x0
	s_mov_b32 s2, -1
                                        ; implicit-def: $sgpr30_sgpr31
                                        ; implicit-def: $vgpr2
                                        ; implicit-def: $sgpr34
                                        ; implicit-def: $sgpr54
	s_cbranch_scc0 .LBB3_21
; %bb.14:                               ;   in Loop: Header=BB3_3 Depth=1
	v_mov_b32_e32 v2, s26
	global_load_b32 v2, v2, s[6:7] scale_offset
	s_wait_loadcnt 0x0
	v_readfirstlane_b32 s2, v2
	s_and_b32 s54, s2, 0x7fffffff
	s_cmp_gt_i32 s26, s24
	s_cselect_b32 s34, -1, 0
	s_cmp_le_i32 s26, s24
	s_cbranch_scc1 .LBB3_25
; %bb.15:                               ;   in Loop: Header=BB3_3 Depth=1
	s_sub_co_i32 s4, s26, s24
	s_mov_b32 s27, -1
	s_cmp_lt_u32 s4, 2
	s_cbranch_scc1 .LBB3_22
; %bb.16:                               ;   in Loop: Header=BB3_3 Depth=1
	v_dual_mov_b32 v5, s54 :: v_dual_mov_b32 v6, s54
	s_and_b32 s3, s4, -2
	s_mov_b32 s30, 0
	s_add_co_i32 s27, s3, -2
.LBB3_17:                               ;   Parent Loop BB3_3 Depth=1
                                        ; =>  This Inner Loop Header: Depth=2
	s_mov_b32 s5, s30
	s_add_co_i32 s30, s24, s30
	v_dual_mov_b32 v3, v6 :: v_dual_mov_b32 v4, v5
	s_ashr_i32 s31, s30, 31
	s_delay_alu instid0(SALU_CYCLE_1) | instskip(NEXT) | instid1(SALU_CYCLE_1)
	s_lshl_b64 s[30:31], s[30:31], 2
	s_add_nc_u64 s[36:37], s[10:11], s[30:31]
	s_add_nc_u64 s[30:31], s[6:7], s[30:31]
	s_clause 0x1
	global_load_b64 v[8:9], v10, s[36:37]
	global_load_b64 v[12:13], v10, s[30:31]
	s_wait_xcnt 0x0
	s_add_co_i32 s30, s5, 2
	s_cmp_lg_u32 s27, s5
	s_cselect_b32 s31, -1, 0
	s_wait_loadcnt 0x1
	v_max_num_f32_e64 v6, |v9|, |v9|
	s_wait_loadcnt 0x0
	v_max_num_f32_e64 v7, |v13|, |v13|
	v_max_num_f32_e64 v8, |v8|, |v8|
	;; [unrolled: 1-line block ×3, first 2 shown]
	v_max_num_f32_e32 v5, v3, v3
	s_delay_alu instid0(VALU_DEP_2) | instskip(NEXT) | instid1(VALU_DEP_1)
	v_dual_max_num_f32 v6, v7, v6 :: v_dual_max_num_f32 v7, v9, v8
	v_cmp_u_f32_e32 vcc_lo, v6, v6
	v_cndmask_b32_e64 v8, 0, 1, vcc_lo
	s_delay_alu instid0(VALU_DEP_3) | instskip(NEXT) | instid1(VALU_DEP_2)
	v_cmp_u_f32_e32 vcc_lo, v7, v7
	v_readfirstlane_b32 s2, v8
	v_cndmask_b32_e64 v9, 0, 1, vcc_lo
	v_dual_max_num_f32 v8, v4, v4 :: v_dual_max_num_f32 v6, v5, v6
	s_lshl_b32 s2, s2, 1
	s_delay_alu instid0(VALU_DEP_2) | instskip(NEXT) | instid1(VALU_DEP_2)
	v_readfirstlane_b32 s36, v9
	v_max_num_f32_e32 v5, v8, v7
	s_or_b32 s2, s36, s2
	s_delay_alu instid0(SALU_CYCLE_1) | instskip(NEXT) | instid1(SALU_CYCLE_1)
	s_and_b32 s36, s2, 3
	s_cmp_lg_u32 s36, 0
	s_cselect_b32 s2, -1, 0
	s_cmp_eq_u32 s36, 0
	s_cselect_b32 s36, -1, 0
	s_delay_alu instid0(SALU_CYCLE_1) | instskip(NEXT) | instid1(SALU_CYCLE_1)
	s_and_b32 s31, s36, s31
	s_and_b32 vcc_lo, exec_lo, s31
	s_cbranch_vccnz .LBB3_17
; %bb.18:                               ;   in Loop: Header=BB3_3 Depth=1
	v_dual_cndmask_b32 v4, v5, v4, s2 :: v_dual_cndmask_b32 v3, v6, v3, s2
	s_xor_b32 s27, s2, -1
	s_cmp_eq_u32 s4, s3
                                        ; implicit-def: $sgpr30_sgpr31
	s_cselect_b32 s4, -1, 0
	s_delay_alu instid0(VALU_DEP_1) | instskip(SKIP_3) | instid1(VALU_DEP_1)
	v_dual_max_num_f32 v4, v4, v4 :: v_dual_max_num_f32 v3, v3, v3
	s_and_b32 s4, s4, s27
	s_mov_b32 s27, 0
	s_and_b32 vcc_lo, exec_lo, s4
	v_readfirstlane_b32 s36, v4
	v_readfirstlane_b32 s37, v3
                                        ; implicit-def: $sgpr4
	s_cbranch_vccnz .LBB3_20
; %bb.19:                               ;   in Loop: Header=BB3_3 Depth=1
	s_and_b32 s2, s2, exec_lo
	s_cselect_b32 s2, s5, s3
	s_mov_b32 s27, -1
	s_add_co_i32 s4, s24, s2
	s_delay_alu instid0(SALU_CYCLE_1) | instskip(NEXT) | instid1(SALU_CYCLE_1)
	s_ashr_i32 s5, s4, 31
	s_lshl_b64 s[30:31], s[4:5], 2
.LBB3_20:                               ;   in Loop: Header=BB3_3 Depth=1
	s_max_num_f32 s54, s36, s37
	s_and_b32 vcc_lo, exec_lo, s27
	s_cbranch_vccnz .LBB3_23
	s_branch .LBB3_25
.LBB3_21:                               ;   in Loop: Header=BB3_3 Depth=1
	s_and_b32 vcc_lo, exec_lo, s2
	s_mov_b32 s2, -1
	s_cbranch_vccz .LBB3_2
	s_branch .LBB3_26
.LBB3_22:                               ;   in Loop: Header=BB3_3 Depth=1
	s_mov_b32 s4, s24
	s_mov_b64 s[30:31], s[28:29]
	s_and_b32 vcc_lo, exec_lo, s27
	s_cbranch_vccz .LBB3_25
.LBB3_23:                               ;   in Loop: Header=BB3_3 Depth=1
	s_add_nc_u64 s[2:3], s[6:7], s[30:31]
	s_add_nc_u64 s[30:31], s[8:9], s[30:31]
.LBB3_24:                               ;   Parent Loop BB3_3 Depth=1
                                        ; =>  This Inner Loop Header: Depth=2
	s_clause 0x1
	global_load_b32 v3, v10, s[2:3]
	global_load_b32 v4, v10, s[30:31]
	s_add_co_i32 s4, s4, 1
	s_wait_xcnt 0x1
	s_add_nc_u64 s[2:3], s[2:3], 4
	s_cmp_lt_i32 s4, s26
	s_wait_xcnt 0x0
	s_add_nc_u64 s[30:31], s[30:31], 4
	s_wait_loadcnt 0x0
	v_max3_num_f32 v3, s54, |v3|, |v4|
	s_delay_alu instid0(VALU_DEP_1)
	v_readfirstlane_b32 s54, v3
	s_cbranch_scc1 .LBB3_24
.LBB3_25:                               ;   in Loop: Header=BB3_3 Depth=1
	s_ashr_i32 s27, s26, 31
	s_delay_alu instid0(SALU_CYCLE_1) | instskip(SKIP_3) | instid1(SALU_CYCLE_1)
	s_lshl_b64 s[2:3], s[26:27], 2
	s_cmp_eq_f32 s54, 0
	s_add_nc_u64 s[30:31], s[6:7], s[2:3]
	s_cselect_b32 s2, -1, 0
	s_and_b32 vcc_lo, exec_lo, s2
	s_mov_b32 s2, -1
	s_cbranch_vccz .LBB3_2
.LBB3_26:                               ;   in Loop: Header=BB3_3 Depth=1
	s_cmp_ge_i32 s52, s33
	s_mov_b32 s35, 0
	s_cselect_b32 s2, -1, 0
	s_branch .LBB3_2
.LBB3_27:                               ;   in Loop: Header=BB3_3 Depth=1
	s_and_b32 vcc_lo, exec_lo, s35
	s_mov_b32 s2, -1
                                        ; implicit-def: $sgpr55
	s_cbranch_vccz .LBB3_111
; %bb.28:                               ;   in Loop: Header=BB3_3 Depth=1
	s_cmp_gt_f32 s54, s15
	s_cselect_b32 s27, -1, 0
	s_cmp_ngt_f32 s54, s15
	s_cbranch_scc0 .LBB3_34
; %bb.29:                               ;   in Loop: Header=BB3_3 Depth=1
	s_cmp_lt_f32 s54, s14
	s_cbranch_scc0 .LBB3_35
; %bb.30:                               ;   in Loop: Header=BB3_3 Depth=1
	v_div_scale_f32 v3, null, s14, s14, s54
	v_div_scale_f32 v6, vcc_lo, s54, s14, s54
	s_mov_b32 s2, 0
	v_rcp_f32_e32 v4, v3
	v_nop
	v_xor_b32_e32 v3, 0x80000000, v3
	s_delay_alu instid0(TRANS32_DEP_1) | instid1(VALU_DEP_1)
	v_fma_f32 v5, v3, v4, 1.0
	s_delay_alu instid0(VALU_DEP_1) | instskip(NEXT) | instid1(VALU_DEP_1)
	v_fmac_f32_e32 v4, v5, v4
	v_mul_f32_e32 v5, v6, v4
	s_delay_alu instid0(VALU_DEP_1) | instskip(NEXT) | instid1(VALU_DEP_1)
	v_fma_f32 v7, v3, v5, v6
	v_fmac_f32_e32 v5, v7, v4
	s_delay_alu instid0(VALU_DEP_1) | instskip(NEXT) | instid1(VALU_DEP_1)
	v_fmac_f32_e32 v6, v3, v5
	v_div_fmas_f32 v3, v6, v4, v5
	s_and_b32 vcc_lo, exec_lo, s34
	s_delay_alu instid0(VALU_DEP_1) | instskip(NEXT) | instid1(VALU_DEP_1)
	v_div_fixup_f32 v3, v3, s14, s54
	v_mul_f32_e32 v4, v2, v3
	global_store_b32 v10, v4, s[30:31]
	s_cbranch_vccz .LBB3_35
; %bb.31:                               ;   in Loop: Header=BB3_3 Depth=1
	s_add_nc_u64 s[2:3], s[6:7], s[28:29]
	s_add_nc_u64 s[4:5], s[8:9], s[28:29]
	s_mov_b32 s35, s24
.LBB3_32:                               ;   Parent Loop BB3_3 Depth=1
                                        ; =>  This Inner Loop Header: Depth=2
	global_load_b32 v4, v10, s[2:3]
	s_add_co_i32 s35, s35, 1
	s_delay_alu instid0(SALU_CYCLE_1)
	s_cmp_lt_i32 s35, s26
	s_wait_loadcnt 0x0
	v_mul_f32_e32 v4, v3, v4
	s_clause 0x1
	global_store_b32 v10, v4, s[2:3]
	global_load_b32 v4, v10, s[4:5]
	s_add_nc_u64 s[2:3], s[2:3], 4
	s_wait_loadcnt 0x0
	v_mul_f32_e32 v4, v3, v4
	global_store_b32 v10, v4, s[4:5]
	s_wait_xcnt 0x0
	s_add_nc_u64 s[4:5], s[4:5], 4
	s_cbranch_scc1 .LBB3_32
; %bb.33:                               ;   in Loop: Header=BB3_3 Depth=1
	s_mov_b32 s2, -1
	s_branch .LBB3_40
.LBB3_34:                               ;   in Loop: Header=BB3_3 Depth=1
	s_mov_b32 s2, 0
	s_cbranch_execnz .LBB3_36
	s_branch .LBB3_40
.LBB3_35:                               ;   in Loop: Header=BB3_3 Depth=1
	s_branch .LBB3_40
.LBB3_36:                               ;   in Loop: Header=BB3_3 Depth=1
	v_div_scale_f32 v3, null, s15, s15, s54
	v_div_scale_f32 v6, vcc_lo, s54, s15, s54
	s_wait_xcnt 0x0
	s_delay_alu instid0(VALU_DEP_2)
	v_rcp_f32_e32 v4, v3
	v_nop
	v_xor_b32_e32 v3, 0x80000000, v3
	s_delay_alu instid0(TRANS32_DEP_1) | instid1(VALU_DEP_1)
	v_fma_f32 v5, v3, v4, 1.0
	s_delay_alu instid0(VALU_DEP_1) | instskip(NEXT) | instid1(VALU_DEP_1)
	v_fmac_f32_e32 v4, v5, v4
	v_mul_f32_e32 v5, v6, v4
	s_delay_alu instid0(VALU_DEP_1) | instskip(NEXT) | instid1(VALU_DEP_1)
	v_fma_f32 v7, v3, v5, v6
	v_fmac_f32_e32 v5, v7, v4
	s_delay_alu instid0(VALU_DEP_1) | instskip(NEXT) | instid1(VALU_DEP_1)
	v_fmac_f32_e32 v6, v3, v5
	v_div_fmas_f32 v3, v6, v4, v5
	s_and_b32 vcc_lo, exec_lo, s34
	s_delay_alu instid0(VALU_DEP_1) | instskip(NEXT) | instid1(VALU_DEP_1)
	v_div_fixup_f32 v3, v3, s15, s54
	v_mul_f32_e32 v2, v2, v3
	global_store_b32 v10, v2, s[30:31]
	s_cbranch_vccz .LBB3_40
; %bb.37:                               ;   in Loop: Header=BB3_3 Depth=1
	s_add_nc_u64 s[2:3], s[6:7], s[28:29]
	s_add_nc_u64 s[4:5], s[8:9], s[28:29]
	s_mov_b32 s35, s24
.LBB3_38:                               ;   Parent Loop BB3_3 Depth=1
                                        ; =>  This Inner Loop Header: Depth=2
	global_load_b32 v2, v10, s[2:3]
	s_add_co_i32 s35, s35, 1
	s_delay_alu instid0(SALU_CYCLE_1)
	s_cmp_ge_i32 s35, s26
	s_wait_loadcnt 0x0
	v_mul_f32_e32 v2, v3, v2
	s_clause 0x1
	global_store_b32 v10, v2, s[2:3]
	global_load_b32 v2, v10, s[4:5]
	s_add_nc_u64 s[2:3], s[2:3], 4
	s_wait_loadcnt 0x0
	v_mul_f32_e32 v2, v3, v2
	global_store_b32 v10, v2, s[4:5]
	s_wait_xcnt 0x0
	s_add_nc_u64 s[4:5], s[4:5], 4
	s_cbranch_scc0 .LBB3_38
; %bb.39:                               ;   in Loop: Header=BB3_3 Depth=1
	s_mov_b32 s2, -1
.LBB3_40:                               ;   in Loop: Header=BB3_3 Depth=1
	s_wait_xcnt 0x0
	v_cndmask_b32_e64 v2, 0, 1, s34
	s_and_b32 vcc_lo, exec_lo, s2
	s_delay_alu instid0(VALU_DEP_1)
	v_cmp_ne_u32_e64 s2, 1, v2
	s_cbranch_vccz .LBB3_50
; %bb.41:                               ;   in Loop: Header=BB3_3 Depth=1
	s_and_b32 vcc_lo, exec_lo, s2
	s_cbranch_vccnz .LBB3_50
; %bb.42:                               ;   in Loop: Header=BB3_3 Depth=1
	s_add_co_i32 s3, s24, 1
	s_mov_b32 s5, -1
	s_max_i32 s3, s26, s3
	s_mov_b32 s4, s24
	s_sub_co_i32 s3, s3, s24
	s_mov_b64 s[34:35], s[28:29]
	s_cmp_lt_u32 s3, 2
	s_cbranch_scc1 .LBB3_47
; %bb.43:                               ;   in Loop: Header=BB3_3 Depth=1
	s_and_b32 s36, s3, -2
	s_mov_b32 s4, s24
	s_mov_b32 s34, s36
.LBB3_44:                               ;   Parent Loop BB3_3 Depth=1
                                        ; =>  This Inner Loop Header: Depth=2
	s_ashr_i32 s5, s4, 31
	s_add_co_i32 s34, s34, -2
	s_wait_xcnt 0x0
	s_lshl_b64 s[38:39], s[4:5], 2
	s_add_co_i32 s4, s4, 2
	s_add_nc_u64 s[38:39], s[10:11], s[38:39]
	s_cmp_lg_u32 s34, 0
	global_load_b64 v[2:3], v10, s[38:39]
	s_wait_loadcnt 0x0
	v_pk_mul_f32 v[2:3], v[2:3], v[2:3]
	global_store_b64 v10, v[2:3], s[38:39]
	s_cbranch_scc1 .LBB3_44
; %bb.45:                               ;   in Loop: Header=BB3_3 Depth=1
	s_cmp_eq_u32 s3, s36
	s_mov_b32 s5, 0
                                        ; implicit-def: $sgpr4
                                        ; implicit-def: $sgpr34_sgpr35
	s_cbranch_scc1 .LBB3_47
; %bb.46:                               ;   in Loop: Header=BB3_3 Depth=1
	s_add_co_i32 s4, s24, s36
	s_delay_alu instid0(SALU_CYCLE_1) | instskip(NEXT) | instid1(SALU_CYCLE_1)
	s_ashr_i32 s5, s4, 31
	s_lshl_b64 s[34:35], s[4:5], 2
	s_mov_b32 s5, -1
.LBB3_47:                               ;   in Loop: Header=BB3_3 Depth=1
	s_delay_alu instid0(SALU_CYCLE_1)
	s_and_b32 vcc_lo, exec_lo, s5
	s_cbranch_vccz .LBB3_50
; %bb.48:                               ;   in Loop: Header=BB3_3 Depth=1
	s_add_nc_u64 s[34:35], s[8:9], s[34:35]
.LBB3_49:                               ;   Parent Loop BB3_3 Depth=1
                                        ; =>  This Inner Loop Header: Depth=2
	global_load_b32 v2, v10, s[34:35]
	s_add_co_i32 s4, s4, 1
	s_delay_alu instid0(SALU_CYCLE_1)
	s_cmp_lt_i32 s4, s26
	s_wait_loadcnt 0x0
	v_mul_f32_e32 v2, v2, v2
	global_store_b32 v10, v2, s[34:35]
	s_wait_xcnt 0x0
	s_add_nc_u64 s[34:35], s[34:35], 4
	s_cbranch_scc1 .LBB3_49
.LBB3_50:                               ;   in Loop: Header=BB3_3 Depth=1
	s_lshl_b64 s[4:5], s[24:25], 2
                                        ; implicit-def: $sgpr55
	s_delay_alu instid0(SALU_CYCLE_1)
	s_add_nc_u64 s[4:5], s[6:7], s[4:5]
	s_clause 0x1
	global_load_b32 v2, v10, s[30:31]
	global_load_b32 v3, v10, s[4:5]
	s_wait_loadcnt 0x1
	v_readfirstlane_b32 s3, v2
	s_wait_loadcnt 0x0
	v_readfirstlane_b32 s4, v3
	s_bitset0_b32 s3, 31
	s_bitset0_b32 s4, 31
	s_delay_alu instid0(SALU_CYCLE_1)
	s_cmp_lt_f32 s3, s4
	s_mov_b32 s4, -1
	s_cselect_b32 s25, s24, s26
	s_cselect_b32 s34, s26, s24
	s_cmp_lt_i32 s53, s12
	s_cselect_b32 s3, -1, 0
	s_cmp_lt_i32 s25, s34
	v_cndmask_b32_e64 v2, 0, 1, s3
	s_delay_alu instid0(VALU_DEP_1)
	v_cmp_ne_u32_e64 s3, 1, v2
	s_cbranch_scc1 .LBB3_100
; %bb.51:                               ;   in Loop: Header=BB3_3 Depth=1
	s_and_b32 vcc_lo, exec_lo, s3
	s_mov_b32 s55, s53
	s_mov_b32 s36, s34
	s_cbranch_vccz .LBB3_56
.LBB3_52:                               ;   in Loop: Header=BB3_3 Depth=1
	s_cbranch_execz .LBB3_101
.LBB3_53:                               ;   in Loop: Header=BB3_3 Depth=1
	s_and_not1_b32 vcc_lo, exec_lo, s27
	s_cbranch_vccz .LBB3_103
	s_branch .LBB3_106
.LBB3_54:                               ;   in Loop: Header=BB3_56 Depth=2
	s_cmp_gt_i32 s36, s25
	s_cselect_b32 s4, -1, 0
	s_cmp_ge_i32 s55, s12
	s_cselect_b32 s5, -1, 0
	s_delay_alu instid0(SALU_CYCLE_1)
	s_or_b32 s5, s4, s5
.LBB3_55:                               ;   in Loop: Header=BB3_56 Depth=2
	s_delay_alu instid0(SALU_CYCLE_1)
	s_and_not1_b32 vcc_lo, exec_lo, s5
	s_cbranch_vccz .LBB3_52
.LBB3_56:                               ;   Parent Loop BB3_3 Depth=1
                                        ; =>  This Loop Header: Depth=2
                                        ;       Child Loop BB3_59 Depth 3
                                        ;       Child Loop BB3_71 Depth 3
	s_ashr_i32 s37, s36, 31
	s_wait_xcnt 0x1
	s_max_i32 s38, s25, s36
	s_wait_xcnt 0x0
	s_lshl_b64 s[42:43], s[36:37], 2
	s_mov_b32 s35, s36
	s_add_nc_u64 s[4:5], s[18:19], s[42:43]
	s_add_nc_u64 s[40:41], s[20:21], s[42:43]
	s_mov_b32 s37, -1
	s_cmp_ge_i32 s35, s25
	s_mov_b32 s44, -1
                                        ; implicit-def: $sgpr39
	s_cbranch_scc1 .LBB3_59
	s_branch .LBB3_58
.LBB3_57:                               ;   in Loop: Header=BB3_59 Depth=3
	s_mov_b32 s35, s39
	s_mov_b32 s37, -1
	s_cmp_ge_i32 s35, s25
	s_mov_b32 s44, -1
                                        ; implicit-def: $sgpr39
	s_cbranch_scc1 .LBB3_59
.LBB3_58:                               ;   in Loop: Header=BB3_56 Depth=2
	s_clause 0x1
	global_load_b64 v[2:3], v10, s[40:41] offset:-4
	global_load_b32 v4, v10, s[4:5] offset:4
	s_wait_xcnt 0x0
	s_add_nc_u64 s[4:5], s[4:5], 4
	s_add_co_i32 s39, s35, 1
	s_add_nc_u64 s[40:41], s[40:41], 4
	s_mov_b32 s37, 0
	s_wait_loadcnt 0x1
	v_mul_f32_e32 v2, v2, v3
	s_wait_loadcnt 0x0
	v_and_b32_e32 v3, 0x7fffffff, v4
	s_delay_alu instid0(VALU_DEP_2) | instskip(NEXT) | instid1(VALU_DEP_1)
	v_and_b32_e32 v2, 0x7fffffff, v2
	v_mul_f32_e32 v2, s51, v2
	s_delay_alu instid0(VALU_DEP_1)
	v_cmp_le_f32_e64 s44, v3, v2
.LBB3_59:                               ;   Parent Loop BB3_3 Depth=1
                                        ;     Parent Loop BB3_56 Depth=2
                                        ; =>    This Inner Loop Header: Depth=3
	s_delay_alu instid0(VALU_DEP_1)
	s_and_not1_b32 vcc_lo, exec_lo, s44
	s_cbranch_vccnz .LBB3_57
; %bb.60:                               ;   in Loop: Header=BB3_56 Depth=2
	s_and_not1_b32 vcc_lo, exec_lo, s37
	s_cbranch_vccz .LBB3_62
; %bb.61:                               ;   in Loop: Header=BB3_56 Depth=2
	s_mov_b32 s38, s35
	global_store_b32 v10, v10, s[4:5]
.LBB3_62:                               ;   in Loop: Header=BB3_56 Depth=2
	s_wait_xcnt 0x0
	s_add_co_i32 s4, s36, 1
	s_cmp_eq_u32 s38, s36
	s_mov_b32 s5, -1
	s_cbranch_scc1 .LBB3_77
; %bb.63:                               ;   in Loop: Header=BB3_56 Depth=2
	s_add_nc_u64 s[40:41], s[6:7], s[42:43]
	s_cmp_lg_u32 s38, s4
	global_load_b32 v2, v10, s[40:41]
	s_wait_loadcnt 0x0
	v_readfirstlane_b32 s35, v2
	s_cbranch_scc0 .LBB3_78
; %bb.64:                               ;   in Loop: Header=BB3_56 Depth=2
	s_mov_b32 s37, 0
	s_cmp_lg_u32 s55, s12
	s_mov_b32 s39, s12
	s_mov_b32 s4, 0
	s_cbranch_scc0 .LBB3_79
; %bb.65:                               ;   in Loop: Header=BB3_56 Depth=2
	s_add_nc_u64 s[44:45], s[10:11], s[42:43]
	s_clause 0x1
	global_load_b32 v2, v10, s[44:45]
	global_load_b32 v3, v10, s[40:41] offset:4
	s_wait_loadcnt 0x1
	v_readfirstlane_b32 s4, v2
	v_cmp_gt_f32_e32 vcc_lo, 0xf800000, v2
	s_mul_f32 s39, s4, 0x4f800000
	s_cmp_lt_f32 s4, 0xf800000
	s_delay_alu instid0(SALU_CYCLE_2) | instskip(NEXT) | instid1(SALU_CYCLE_1)
	s_cselect_b32 s4, s39, s4
	v_s_sqrt_f32 s39, s4
	s_mov_b32 s47, s4
	s_delay_alu instid0(TRANS32_DEP_1) | instskip(NEXT) | instid1(SALU_CYCLE_1)
	s_add_co_i32 s46, s39, -1
	s_xor_b32 s48, s46, 0x80000000
	s_delay_alu instid0(SALU_CYCLE_1) | instskip(SKIP_1) | instid1(SALU_CYCLE_2)
	s_fmac_f32 s47, s48, s39
	s_mov_b32 s48, s4
	s_cmp_le_f32 s47, 0
	s_cselect_b32 s46, s46, s39
	s_add_co_i32 s47, s39, 1
	s_delay_alu instid0(SALU_CYCLE_1) | instskip(NEXT) | instid1(SALU_CYCLE_1)
	s_xor_b32 s49, s47, 0x80000000
	s_fmac_f32 s48, s49, s39
	s_delay_alu instid0(SALU_CYCLE_3) | instskip(SKIP_1) | instid1(SALU_CYCLE_1)
	s_cmp_gt_f32 s48, 0
	s_cselect_b32 s39, s47, s46
	s_mul_f32 s46, s39, 0x37800000
	s_delay_alu instid0(SALU_CYCLE_3) | instskip(SKIP_3) | instid1(VALU_DEP_1)
	v_dual_mov_b32 v4, s38 :: v_dual_mov_b32 v5, s46
	global_load_b32 v4, v4, s[6:7] scale_offset
	v_cndmask_b32_e32 v2, s39, v5, vcc_lo
	v_cmp_class_f32_e64 s39, s4, 0x260
	v_cndmask_b32_e64 v2, v2, s4, s39
	s_wait_loadcnt 0x1
	s_delay_alu instid0(VALU_DEP_1) | instskip(NEXT) | instid1(VALU_DEP_1)
	v_dual_subrev_f32 v3, s35, v3 :: v_dual_add_f32 v5, v2, v2
	v_div_scale_f32 v6, null, v5, v5, v3
	v_div_scale_f32 v9, vcc_lo, v3, v5, v3
	s_delay_alu instid0(VALU_DEP_2)
	v_rcp_f32_e32 v7, v6
	v_nop
	v_xor_b32_e32 v6, 0x80000000, v6
	s_delay_alu instid0(TRANS32_DEP_1) | instid1(VALU_DEP_1)
	v_fma_f32 v8, v6, v7, 1.0
	s_delay_alu instid0(VALU_DEP_1) | instskip(NEXT) | instid1(VALU_DEP_1)
	v_fmac_f32_e32 v7, v8, v7
	v_mul_f32_e32 v8, v9, v7
	s_delay_alu instid0(VALU_DEP_1) | instskip(NEXT) | instid1(VALU_DEP_1)
	v_fma_f32 v11, v6, v8, v9
	v_fmac_f32_e32 v8, v11, v7
	s_delay_alu instid0(VALU_DEP_1) | instskip(NEXT) | instid1(VALU_DEP_1)
	v_fmac_f32_e32 v9, v6, v8
	v_div_fmas_f32 v6, v9, v7, v8
	s_delay_alu instid0(VALU_DEP_1) | instskip(NEXT) | instid1(VALU_DEP_1)
	v_div_fixup_f32 v3, v6, v5, v3
	v_readfirstlane_b32 s4, v3
	v_cmp_nle_f32_e32 vcc_lo, 0, v3
	s_fmaak_f32 s4, s4, s4, 0x3f800000
	s_delay_alu instid0(SALU_CYCLE_3) | instskip(SKIP_1) | instid1(SALU_CYCLE_2)
	s_mul_f32 s39, s4, 0x4f800000
	s_cmp_lt_f32 s4, 0xf800000
	s_cselect_b32 s39, s39, s4
	s_delay_alu instid0(SALU_CYCLE_1) | instskip(SKIP_1) | instid1(TRANS32_DEP_1)
	v_s_sqrt_f32 s46, s39
	s_mov_b32 s48, s39
	s_add_co_i32 s47, s46, -1
	s_delay_alu instid0(SALU_CYCLE_1) | instskip(NEXT) | instid1(SALU_CYCLE_1)
	s_xor_b32 s49, s47, 0x80000000
	s_fmac_f32 s48, s49, s46
	s_mov_b32 s49, s39
	s_delay_alu instid0(SALU_CYCLE_2) | instskip(SKIP_2) | instid1(SALU_CYCLE_1)
	s_cmp_le_f32 s48, 0
	s_cselect_b32 s47, s47, s46
	s_add_co_i32 s48, s46, 1
	s_xor_b32 s56, s48, 0x80000000
	s_delay_alu instid0(SALU_CYCLE_1) | instskip(SKIP_1) | instid1(SALU_CYCLE_2)
	s_fmac_f32 s49, s56, s46
	v_cmp_class_f32_e64 s46, s39, 0x260
	s_cmp_gt_f32 s49, 0
	s_cselect_b32 s47, s48, s47
	s_cmp_lt_f32 s4, 0xf800000
	s_mul_f32 s4, s47, 0x37800000
	s_delay_alu instid0(SALU_CYCLE_3) | instskip(SKIP_2) | instid1(SALU_CYCLE_1)
	s_cselect_b32 s4, s4, s47
	s_and_b32 s46, s46, exec_lo
	s_cselect_b32 s4, s39, s4
	s_or_b32 s39, s4, 0x80000000
	s_bitset0_b32 s4, 31
	v_mov_b32_e32 v5, s39
	s_cmp_le_i32 s38, s36
	s_delay_alu instid0(VALU_DEP_1) | instskip(NEXT) | instid1(VALU_DEP_1)
	v_cndmask_b32_e32 v5, s4, v5, vcc_lo
	v_add_f32_e32 v3, v3, v5
	s_delay_alu instid0(VALU_DEP_1) | instskip(SKIP_1) | instid1(VALU_DEP_2)
	v_div_scale_f32 v5, null, v3, v3, v2
	v_div_scale_f32 v8, vcc_lo, v2, v3, v2
	v_rcp_f32_e32 v6, v5
	v_nop
	v_xor_b32_e32 v5, 0x80000000, v5
	s_delay_alu instid0(TRANS32_DEP_1) | instid1(VALU_DEP_1)
	v_fma_f32 v7, v5, v6, 1.0
	s_delay_alu instid0(VALU_DEP_1) | instskip(NEXT) | instid1(VALU_DEP_1)
	v_fmac_f32_e32 v6, v7, v6
	v_mul_f32_e32 v7, v8, v6
	s_delay_alu instid0(VALU_DEP_1) | instskip(NEXT) | instid1(VALU_DEP_1)
	v_fma_f32 v9, v5, v7, v8
	v_fmac_f32_e32 v7, v9, v6
	s_delay_alu instid0(VALU_DEP_1) | instskip(NEXT) | instid1(VALU_DEP_1)
	v_fmac_f32_e32 v8, v5, v7
	v_div_fmas_f32 v5, v8, v6, v7
	s_delay_alu instid0(VALU_DEP_1) | instskip(NEXT) | instid1(VALU_DEP_1)
	v_div_fixup_f32 v2, v5, v3, v2
	v_dual_mov_b32 v3, 0 :: v_dual_sub_f32 v11, s35, v2
	s_wait_loadcnt 0x0
	s_delay_alu instid0(VALU_DEP_1) | instskip(NEXT) | instid1(VALU_DEP_1)
	v_sub_f32_e32 v9, v4, v11
	v_mul_f32_e32 v2, v9, v9
	s_cbranch_scc1 .LBB3_85
; %bb.66:                               ;   in Loop: Header=BB3_56 Depth=2
	s_ashr_i32 s39, s38, 31
	s_delay_alu instid0(SALU_CYCLE_1) | instskip(NEXT) | instid1(SALU_CYCLE_1)
	s_lshl_b64 s[46:47], s[38:39], 2
	s_add_nc_u64 s[48:49], s[10:11], s[46:47]
	s_add_nc_u64 s[46:47], s[6:7], s[46:47]
	s_clause 0x1
	global_load_b32 v12, v10, s[48:49] offset:-4
	global_load_b32 v13, v10, s[46:47] offset:-4
	s_wait_loadcnt 0x1
	s_wait_xcnt 0x2
	v_add_f32_e32 v4, v2, v12
	s_delay_alu instid0(VALU_DEP_1) | instskip(NEXT) | instid1(VALU_DEP_1)
	v_div_scale_f32 v3, null, v4, v4, v12
	v_rcp_f32_e32 v6, v3
	v_nop
	v_xor_b32_e32 v3, 0x80000000, v3
	s_delay_alu instid0(TRANS32_DEP_1) | instid1(VALU_DEP_1)
	v_fma_f32 v8, v3, v6, 1.0
	s_delay_alu instid0(VALU_DEP_1) | instskip(SKIP_3) | instid1(VALU_DEP_3)
	v_fmac_f32_e32 v6, v8, v6
	v_div_scale_f32 v5, null, v4, v4, v2
	v_div_scale_f32 v15, vcc_lo, v12, v4, v12
	v_div_scale_f32 v8, s4, v2, v4, v2
	v_rcp_f32_e32 v7, v5
	v_nop
	v_xor_b32_e32 v5, 0x80000000, v5
	s_delay_alu instid0(TRANS32_DEP_1) | instid1(VALU_DEP_1)
	v_fma_f32 v14, v5, v7, 1.0
	s_delay_alu instid0(VALU_DEP_1) | instskip(NEXT) | instid1(VALU_DEP_1)
	v_dual_fmac_f32 v7, v14, v7 :: v_dual_mul_f32 v14, v15, v6
	v_dual_mul_f32 v16, v8, v7 :: v_dual_fma_f32 v17, v3, v14, v15
	s_delay_alu instid0(VALU_DEP_1) | instskip(NEXT) | instid1(VALU_DEP_1)
	v_fmac_f32_e32 v14, v17, v6
	v_dual_fma_f32 v18, v5, v16, v8 :: v_dual_fmac_f32 v15, v3, v14
	s_delay_alu instid0(VALU_DEP_1) | instskip(NEXT) | instid1(VALU_DEP_2)
	v_fmac_f32_e32 v16, v18, v7
	v_div_fmas_f32 v3, v15, v6, v14
	s_mov_b32 vcc_lo, s4
	s_delay_alu instid0(VALU_DEP_1) | instskip(NEXT) | instid1(VALU_DEP_3)
	v_div_fixup_f32 v3, v3, v4, v12
	v_fmac_f32_e32 v8, v5, v16
	s_delay_alu instid0(VALU_DEP_1) | instskip(SKIP_2) | instid1(VALU_DEP_2)
	v_div_fmas_f32 v5, v8, v7, v16
	s_wait_loadcnt 0x0
	v_sub_f32_e32 v8, v13, v11
	v_div_fixup_f32 v4, v5, v4, v2
	v_dual_mov_b32 v5, v3 :: v_dual_mul_f32 v2, v9, v3
	s_delay_alu instid0(VALU_DEP_2) | instskip(NEXT) | instid1(VALU_DEP_2)
	v_cmp_eq_f32_e32 vcc_lo, 0, v4
	v_pk_fma_f32 v[6:7], v[8:9], v[4:5], v[2:3] op_sel_hi:[1,1,0] neg_lo:[0,0,1] neg_hi:[0,0,1]
	s_delay_alu instid0(VALU_DEP_1) | instskip(NEXT) | instid1(VALU_DEP_1)
	v_sub_f32_e32 v2, v13, v6
	v_add_f32_e32 v2, v9, v2
	global_store_b32 v10, v2, s[46:47]
	s_cbranch_vccnz .LBB3_68
; %bb.67:                               ;   in Loop: Header=BB3_56 Depth=2
	s_wait_xcnt 0x0
	v_mul_f32_e32 v2, v6, v6
	s_delay_alu instid0(VALU_DEP_1) | instskip(NEXT) | instid1(VALU_DEP_1)
	v_div_scale_f32 v5, null, v4, v4, v2
	v_rcp_f32_e32 v7, v5
	v_nop
	v_xor_b32_e32 v5, 0x80000000, v5
	s_delay_alu instid0(TRANS32_DEP_1) | instid1(VALU_DEP_1)
	v_fma_f32 v8, v5, v7, 1.0
	s_delay_alu instid0(VALU_DEP_1) | instskip(SKIP_1) | instid1(VALU_DEP_1)
	v_fmac_f32_e32 v7, v8, v7
	v_div_scale_f32 v8, vcc_lo, v2, v4, v2
	v_mul_f32_e32 v9, v8, v7
	s_delay_alu instid0(VALU_DEP_1) | instskip(NEXT) | instid1(VALU_DEP_1)
	v_fma_f32 v12, v5, v9, v8
	v_fmac_f32_e32 v9, v12, v7
	s_delay_alu instid0(VALU_DEP_1) | instskip(NEXT) | instid1(VALU_DEP_1)
	v_fmac_f32_e32 v8, v5, v9
	v_div_fmas_f32 v5, v8, v7, v9
	s_delay_alu instid0(VALU_DEP_1)
	v_div_fixup_f32 v12, v5, v4, v2
.LBB3_68:                               ;   in Loop: Header=BB3_56 Depth=2
	s_add_co_i32 s4, s38, -1
	s_delay_alu instid0(SALU_CYCLE_1)
	s_cmp_le_i32 s4, s36
	s_cbranch_scc1 .LBB3_84
; %bb.69:                               ;   in Loop: Header=BB3_56 Depth=2
	s_wait_xcnt 0x0
	s_add_co_i32 s46, s38, -2
	v_mov_b32_e32 v9, v6
	s_ashr_i32 s47, s46, 31
	s_mov_b32 s39, -1
	s_lshl_b64 s[48:49], s[46:47], 2
	s_delay_alu instid0(SALU_CYCLE_1)
	s_add_nc_u64 s[46:47], s[20:21], s[48:49]
	s_add_nc_u64 s[48:49], s[22:23], s[48:49]
	global_load_b32 v5, v10, s[48:49] offset:-4
	s_cmp_eq_u32 s39, 0
	s_wait_loadcnt 0x0
	v_add_f32_e32 v2, v12, v5
	s_cbranch_scc1 .LBB3_71
.LBB3_70:                               ;   in Loop: Header=BB3_56 Depth=2
	s_delay_alu instid0(VALU_DEP_1)
	v_mul_f32_e32 v3, v3, v2
	global_store_b32 v10, v3, s[48:49]
.LBB3_71:                               ;   Parent Loop BB3_3 Depth=1
                                        ;     Parent Loop BB3_56 Depth=2
                                        ; =>    This Inner Loop Header: Depth=3
	global_load_b32 v13, v10, s[46:47] offset:-4
	s_wait_xcnt 0x1
	v_div_scale_f32 v3, null, v2, v2, v5
	v_div_scale_f32 v6, null, v2, v2, v12
	v_div_scale_f32 v16, vcc_lo, v5, v2, v5
	s_delay_alu instid0(VALU_DEP_3)
	v_rcp_f32_e32 v7, v3
	v_nop
	v_xor_b32_e32 v3, 0x80000000, v3
	v_rcp_f32_e32 v8, v6
	v_nop
	v_xor_b32_e32 v6, 0x80000000, v6
	s_delay_alu instid0(TRANS32_DEP_2) | instid1(VALU_DEP_3)
	v_fma_f32 v14, v3, v7, 1.0
	s_delay_alu instid0(TRANS32_DEP_1) | instid1(VALU_DEP_2)
	v_fma_f32 v15, v6, v8, 1.0
	s_delay_alu instid0(VALU_DEP_2) | instskip(SKIP_1) | instid1(VALU_DEP_2)
	v_fmac_f32_e32 v7, v14, v7
	v_div_scale_f32 v14, s4, v12, v2, v12
	v_dual_fmac_f32 v8, v15, v8 :: v_dual_mul_f32 v15, v16, v7
	s_delay_alu instid0(VALU_DEP_1) | instskip(NEXT) | instid1(VALU_DEP_1)
	v_dual_mul_f32 v17, v14, v8 :: v_dual_fma_f32 v18, v3, v15, v16
	v_fma_f32 v19, v6, v17, v14
	s_delay_alu instid0(VALU_DEP_1) | instskip(NEXT) | instid1(VALU_DEP_1)
	v_dual_fmac_f32 v15, v18, v7 :: v_dual_fmac_f32 v17, v19, v8
	v_dual_fmac_f32 v16, v3, v15 :: v_dual_fmac_f32 v14, v6, v17
	s_delay_alu instid0(VALU_DEP_1) | instskip(SKIP_1) | instid1(VALU_DEP_2)
	v_div_fmas_f32 v3, v16, v7, v15
	s_mov_b32 vcc_lo, s4
	v_div_fmas_f32 v6, v14, v8, v17
	s_delay_alu instid0(VALU_DEP_2) | instskip(NEXT) | instid1(VALU_DEP_2)
	v_div_fixup_f32 v3, v3, v2, v5
	v_div_fixup_f32 v2, v6, v2, v12
	s_delay_alu instid0(VALU_DEP_2) | instskip(NEXT) | instid1(VALU_DEP_2)
	v_mul_f32_e32 v6, v9, v3
	v_cmp_eq_f32_e32 vcc_lo, 0, v2
	s_and_b32 vcc_lo, exec_lo, vcc_lo
	s_wait_loadcnt 0x0
	v_sub_f32_e32 v8, v13, v11
	s_delay_alu instid0(VALU_DEP_1) | instskip(NEXT) | instid1(VALU_DEP_1)
	v_pk_fma_f32 v[6:7], v[8:9], v[2:3], v[6:7] op_sel_hi:[1,1,0] neg_lo:[0,0,1] neg_hi:[0,0,1]
	v_sub_f32_e32 v7, v13, v6
	s_delay_alu instid0(VALU_DEP_1)
	v_add_f32_e32 v7, v9, v7
	global_store_b32 v10, v7, s[46:47]
	s_cbranch_vccz .LBB3_76
; %bb.72:                               ;   in Loop: Header=BB3_71 Depth=3
	v_mul_f32_e32 v12, v4, v5
	s_cbranch_execnz .LBB3_74
.LBB3_73:                               ;   in Loop: Header=BB3_71 Depth=3
	v_mul_f32_e32 v4, v6, v6
	s_delay_alu instid0(VALU_DEP_1) | instskip(SKIP_1) | instid1(VALU_DEP_1)
	v_div_scale_f32 v5, null, v2, v2, v4
	s_wait_xcnt 0x0
	v_rcp_f32_e32 v7, v5
	v_nop
	v_xor_b32_e32 v5, 0x80000000, v5
	s_delay_alu instid0(TRANS32_DEP_1) | instid1(VALU_DEP_1)
	v_fma_f32 v8, v5, v7, 1.0
	s_delay_alu instid0(VALU_DEP_1) | instskip(SKIP_1) | instid1(VALU_DEP_1)
	v_fmac_f32_e32 v7, v8, v7
	v_div_scale_f32 v8, vcc_lo, v4, v2, v4
	v_mul_f32_e32 v9, v8, v7
	s_delay_alu instid0(VALU_DEP_1) | instskip(NEXT) | instid1(VALU_DEP_1)
	v_fma_f32 v12, v5, v9, v8
	v_fmac_f32_e32 v9, v12, v7
	s_delay_alu instid0(VALU_DEP_1) | instskip(NEXT) | instid1(VALU_DEP_1)
	v_fmac_f32_e32 v8, v5, v9
	v_div_fmas_f32 v5, v8, v7, v9
	s_delay_alu instid0(VALU_DEP_1)
	v_div_fixup_f32 v12, v5, v2, v4
.LBB3_74:                               ;   in Loop: Header=BB3_71 Depth=3
	s_add_co_i32 s39, s39, -1
	s_add_nc_u64 s[48:49], s[48:49], -4
	s_add_co_i32 s4, s38, s39
	s_wait_xcnt 0x0
	s_add_nc_u64 s[46:47], s[46:47], -4
	s_cmp_le_i32 s4, s36
	s_cbranch_scc1 .LBB3_84
; %bb.75:                               ;   in Loop: Header=BB3_71 Depth=3
	v_dual_mov_b32 v4, v2 :: v_dual_mov_b32 v9, v6
	global_load_b32 v5, v10, s[48:49] offset:-4
	s_cmp_eq_u32 s39, 0
	s_wait_loadcnt 0x0
	v_add_f32_e32 v2, v12, v5
	s_cbranch_scc0 .LBB3_70
	s_branch .LBB3_71
.LBB3_76:                               ;   in Loop: Header=BB3_71 Depth=3
                                        ; implicit-def: $vgpr12
	s_branch .LBB3_73
.LBB3_77:                               ;   in Loop: Header=BB3_56 Depth=2
	s_mov_b32 s36, s4
	s_cbranch_execnz .LBB3_54
	s_branch .LBB3_55
.LBB3_78:                               ;   in Loop: Header=BB3_56 Depth=2
	s_mov_b32 s37, -1
	s_mov_b32 s4, 0
                                        ; implicit-def: $sgpr39
.LBB3_79:                               ;   in Loop: Header=BB3_56 Depth=2
	s_and_b32 vcc_lo, exec_lo, s37
	s_cbranch_vccz .LBB3_86
.LBB3_80:                               ;   in Loop: Header=BB3_56 Depth=2
	s_add_nc_u64 s[42:43], s[10:11], s[42:43]
	s_wait_xcnt 0x0
	v_mov_b32_e32 v3, s38
	global_load_b32 v2, v10, s[42:43]
	global_load_b32 v3, v3, s[6:7] scale_offset
	s_wait_loadcnt 0x1
	v_readfirstlane_b32 s4, v2
	s_mul_f32 s37, s4, 0x4f800000
	s_cmp_lt_f32 s4, 0xf800000
	s_delay_alu instid0(SALU_CYCLE_2) | instskip(NEXT) | instid1(SALU_CYCLE_1)
	s_cselect_b32 s37, s37, s4
	v_s_sqrt_f32 s39, s37
	s_mov_b32 s45, s37
	s_delay_alu instid0(TRANS32_DEP_1) | instskip(NEXT) | instid1(SALU_CYCLE_1)
	s_add_co_i32 s44, s39, -1
	s_xor_b32 s46, s44, 0x80000000
	s_delay_alu instid0(SALU_CYCLE_1) | instskip(SKIP_1) | instid1(SALU_CYCLE_2)
	s_fmac_f32 s45, s46, s39
	s_mov_b32 s46, s37
	s_cmp_le_f32 s45, 0
	s_cselect_b32 s44, s44, s39
	s_add_co_i32 s45, s39, 1
	s_delay_alu instid0(SALU_CYCLE_1) | instskip(NEXT) | instid1(SALU_CYCLE_1)
	s_xor_b32 s47, s45, 0x80000000
	s_fmac_f32 s46, s47, s39
	s_delay_alu instid0(SALU_CYCLE_3)
	s_cmp_gt_f32 s46, 0
	s_cselect_b32 s39, s45, s44
	s_cmp_lt_f32 s4, 0xf800000
	s_mul_f32 s44, s39, 0x37800000
	v_cmp_class_f32_e64 s45, s37, 0x260
	s_wait_loadcnt 0x0
	v_readfirstlane_b32 s4, v3
	s_cselect_b32 s39, s44, s39
	s_and_b32 s44, s45, exec_lo
	s_cselect_b32 s37, s37, s39
	s_sub_f32 s44, s35, s4
	s_add_f32 s45, s37, s37
	s_delay_alu instid0(SALU_CYCLE_2) | instskip(NEXT) | instid1(SALU_CYCLE_2)
	s_and_b32 s39, s44, 0x7fffffff
	s_and_b32 s46, s45, 0x7fffffff
	s_delay_alu instid0(SALU_CYCLE_1)
	s_cmp_ngt_f32 s39, s46
	s_cbranch_scc0 .LBB3_83
; %bb.81:                               ;   in Loop: Header=BB3_56 Depth=2
	s_cmp_nlt_f32 s39, s46
	s_cbranch_scc0 .LBB3_87
; %bb.82:                               ;   in Loop: Header=BB3_56 Depth=2
	s_wait_xcnt 0x0
	v_cvt_f64_f32_e32 v[2:3], s46
	s_delay_alu instid0(VALU_DEP_1) | instskip(NEXT) | instid1(VALU_DEP_1)
	v_mul_f64_e32 v[2:3], 0x3ff6a09e667f3bcd, v[2:3]
	v_cvt_f32_f64_e32 v4, v[2:3]
	s_cbranch_execz .LBB3_88
	s_branch .LBB3_89
.LBB3_83:                               ;   in Loop: Header=BB3_56 Depth=2
                                        ; implicit-def: $vgpr4
	s_branch .LBB3_90
.LBB3_84:                               ;   in Loop: Header=BB3_56 Depth=2
	s_wait_xcnt 0x0
	v_dual_mov_b32 v2, v12 :: v_dual_mov_b32 v9, v6
.LBB3_85:                               ;   in Loop: Header=BB3_56 Depth=2
	s_delay_alu instid0(VALU_DEP_1) | instskip(NEXT) | instid1(VALU_DEP_2)
	v_mul_f32_e32 v2, v3, v2
	v_add_f32_e32 v3, v11, v9
	s_add_co_i32 s39, s55, 1
	s_mov_b32 s4, -1
	s_clause 0x1
	global_store_b32 v10, v2, s[44:45]
	global_store_b32 v10, v3, s[40:41]
	s_and_b32 vcc_lo, exec_lo, s37
	s_cbranch_vccnz .LBB3_80
.LBB3_86:                               ;   in Loop: Header=BB3_56 Depth=2
	s_mov_b32 s55, s39
	s_and_b32 vcc_lo, exec_lo, s4
	s_cbranch_vccz .LBB3_55
	s_branch .LBB3_54
.LBB3_87:                               ;   in Loop: Header=BB3_56 Depth=2
                                        ; implicit-def: $vgpr4
.LBB3_88:                               ;   in Loop: Header=BB3_56 Depth=2
	v_div_scale_f32 v2, null, s46, s46, s39
	v_div_scale_f32 v5, vcc_lo, s39, s46, s39
	s_wait_xcnt 0x0
	s_delay_alu instid0(VALU_DEP_2)
	v_rcp_f32_e32 v3, v2
	v_nop
	v_xor_b32_e32 v2, 0x80000000, v2
	s_delay_alu instid0(TRANS32_DEP_1) | instid1(VALU_DEP_1)
	v_fma_f32 v4, v2, v3, 1.0
	s_delay_alu instid0(VALU_DEP_1) | instskip(NEXT) | instid1(VALU_DEP_1)
	v_fmac_f32_e32 v3, v4, v3
	v_mul_f32_e32 v4, v5, v3
	s_delay_alu instid0(VALU_DEP_1) | instskip(NEXT) | instid1(VALU_DEP_1)
	v_fma_f32 v6, v2, v4, v5
	v_fmac_f32_e32 v4, v6, v3
	s_delay_alu instid0(VALU_DEP_1) | instskip(NEXT) | instid1(VALU_DEP_1)
	v_fmac_f32_e32 v5, v2, v4
	v_div_fmas_f32 v2, v5, v3, v4
	s_delay_alu instid0(VALU_DEP_1) | instskip(NEXT) | instid1(VALU_DEP_1)
	v_div_fixup_f32 v2, v2, |s45|, |s44|
	v_readfirstlane_b32 s47, v2
	s_fmaak_f32 s47, s47, s47, 0x3f800000
	s_delay_alu instid0(SALU_CYCLE_3) | instskip(SKIP_1) | instid1(SALU_CYCLE_2)
	s_mul_f32 s48, s47, 0x4f800000
	s_cmp_lt_f32 s47, 0xf800000
	s_cselect_b32 s48, s48, s47
	s_delay_alu instid0(SALU_CYCLE_1) | instskip(SKIP_1) | instid1(TRANS32_DEP_1)
	v_s_sqrt_f32 s49, s48
	s_mov_b32 s57, s48
	s_add_co_i32 s56, s49, -1
	s_delay_alu instid0(SALU_CYCLE_1) | instskip(NEXT) | instid1(SALU_CYCLE_1)
	s_xor_b32 s58, s56, 0x80000000
	s_fmac_f32 s57, s58, s49
	s_mov_b32 s58, s48
	s_delay_alu instid0(SALU_CYCLE_2) | instskip(SKIP_2) | instid1(SALU_CYCLE_1)
	s_cmp_le_f32 s57, 0
	s_cselect_b32 s56, s56, s49
	s_add_co_i32 s57, s49, 1
	s_xor_b32 s59, s57, 0x80000000
	s_delay_alu instid0(SALU_CYCLE_1) | instskip(NEXT) | instid1(SALU_CYCLE_3)
	s_fmac_f32 s58, s59, s49
	s_cmp_gt_f32 s58, 0
	s_cselect_b32 s49, s57, s56
	s_cmp_lt_f32 s47, 0xf800000
	s_mul_f32 s47, s49, 0x37800000
	v_cmp_class_f32_e64 s56, s48, 0x260
	s_delay_alu instid0(SALU_CYCLE_2) | instskip(SKIP_2) | instid1(SALU_CYCLE_1)
	s_cselect_b32 s47, s47, s49
	s_and_b32 s49, s56, exec_lo
	s_cselect_b32 s47, s48, s47
	s_mul_f32 s47, s46, s47
	s_delay_alu instid0(SALU_CYCLE_3)
	v_mov_b32_e32 v4, s47
.LBB3_89:                               ;   in Loop: Header=BB3_56 Depth=2
	s_cbranch_execnz .LBB3_91
.LBB3_90:                               ;   in Loop: Header=BB3_56 Depth=2
	v_div_scale_f32 v2, null, s39, s39, s46
	v_div_scale_f32 v5, vcc_lo, s46, s39, s46
	s_wait_xcnt 0x0
	s_delay_alu instid0(VALU_DEP_2)
	v_rcp_f32_e32 v3, v2
	v_nop
	v_xor_b32_e32 v2, 0x80000000, v2
	s_delay_alu instid0(TRANS32_DEP_1) | instid1(VALU_DEP_1)
	v_fma_f32 v4, v2, v3, 1.0
	s_delay_alu instid0(VALU_DEP_1) | instskip(NEXT) | instid1(VALU_DEP_1)
	v_fmac_f32_e32 v3, v4, v3
	v_mul_f32_e32 v4, v5, v3
	s_delay_alu instid0(VALU_DEP_1) | instskip(NEXT) | instid1(VALU_DEP_1)
	v_fma_f32 v6, v2, v4, v5
	v_fmac_f32_e32 v4, v6, v3
	s_delay_alu instid0(VALU_DEP_1) | instskip(NEXT) | instid1(VALU_DEP_1)
	v_fmac_f32_e32 v5, v2, v4
	v_div_fmas_f32 v2, v5, v3, v4
	s_delay_alu instid0(VALU_DEP_1) | instskip(NEXT) | instid1(VALU_DEP_1)
	v_div_fixup_f32 v2, v2, |s44|, |s45|
	v_readfirstlane_b32 s44, v2
	s_fmaak_f32 s44, s44, s44, 0x3f800000
	s_delay_alu instid0(SALU_CYCLE_3) | instskip(SKIP_1) | instid1(SALU_CYCLE_2)
	s_mul_f32 s45, s44, 0x4f800000
	s_cmp_lt_f32 s44, 0xf800000
	s_cselect_b32 s45, s45, s44
	s_delay_alu instid0(SALU_CYCLE_1) | instskip(SKIP_1) | instid1(TRANS32_DEP_1)
	v_s_sqrt_f32 s46, s45
	s_mov_b32 s48, s45
	s_add_co_i32 s47, s46, -1
	s_delay_alu instid0(SALU_CYCLE_1) | instskip(NEXT) | instid1(SALU_CYCLE_1)
	s_xor_b32 s49, s47, 0x80000000
	s_fmac_f32 s48, s49, s46
	s_mov_b32 s49, s45
	s_delay_alu instid0(SALU_CYCLE_2) | instskip(SKIP_2) | instid1(SALU_CYCLE_1)
	s_cmp_le_f32 s48, 0
	s_cselect_b32 s47, s47, s46
	s_add_co_i32 s48, s46, 1
	s_xor_b32 s56, s48, 0x80000000
	s_delay_alu instid0(SALU_CYCLE_1) | instskip(NEXT) | instid1(SALU_CYCLE_3)
	s_fmac_f32 s49, s56, s46
	s_cmp_gt_f32 s49, 0
	s_cselect_b32 s46, s48, s47
	s_cmp_lt_f32 s44, 0xf800000
	s_mul_f32 s44, s46, 0x37800000
	v_cmp_class_f32_e64 s47, s45, 0x260
	s_delay_alu instid0(SALU_CYCLE_2) | instskip(SKIP_2) | instid1(SALU_CYCLE_1)
	s_cselect_b32 s44, s44, s46
	s_and_b32 s46, s47, exec_lo
	s_cselect_b32 s44, s45, s44
	s_mul_f32 s39, s39, s44
	s_delay_alu instid0(SALU_CYCLE_3)
	v_mov_b32_e32 v4, s39
.LBB3_91:                               ;   in Loop: Header=BB3_56 Depth=2
	s_and_b32 s39, s35, 0x7fffffff
	s_and_b32 s44, s4, 0x7fffffff
	s_delay_alu instid0(SALU_CYCLE_1) | instskip(SKIP_3) | instid1(SALU_CYCLE_1)
	s_cmp_gt_f32 s39, s44
	s_add_f32 s44, s35, s4
	s_cselect_b32 s39, s4, s35
	s_cselect_b32 s35, s35, s4
	s_cmp_nlt_f32 s44, 0
	s_cbranch_scc0 .LBB3_94
; %bb.92:                               ;   in Loop: Header=BB3_56 Depth=2
	s_cmp_ngt_f32 s44, 0
	s_cbranch_scc0 .LBB3_95
; %bb.93:                               ;   in Loop: Header=BB3_56 Depth=2
	s_wait_xcnt 0x0
	s_delay_alu instid0(VALU_DEP_1)
	v_pk_mul_f32 v[2:3], v[4:5], v[0:1] op_sel_hi:[0,1]
	s_cbranch_execz .LBB3_96
	s_branch .LBB3_97
.LBB3_94:                               ;   in Loop: Header=BB3_56 Depth=2
                                        ; implicit-def: $vgpr3
	s_branch .LBB3_98
.LBB3_95:                               ;   in Loop: Header=BB3_56 Depth=2
                                        ; implicit-def: $vgpr3
.LBB3_96:                               ;   in Loop: Header=BB3_56 Depth=2
	s_delay_alu instid0(VALU_DEP_1) | instskip(SKIP_2) | instid1(VALU_DEP_3)
	v_add_f32_e32 v2, s44, v4
	v_cvt_f64_f32_e32 v[6:7], s35
	v_cvt_f64_f32_e32 v[12:13], s37
	v_mul_f32_e32 v2, 0.5, v2
	s_delay_alu instid0(VALU_DEP_1) | instskip(NEXT) | instid1(VALU_DEP_1)
	v_cvt_f64_f32_e32 v[8:9], v2
	v_div_scale_f64 v[14:15], null, v[8:9], v[8:9], v[6:7]
	s_delay_alu instid0(VALU_DEP_4) | instskip(SKIP_1) | instid1(VALU_DEP_3)
	v_div_scale_f64 v[16:17], null, v[8:9], v[8:9], v[12:13]
	v_div_scale_f64 v[26:27], vcc_lo, v[6:7], v[8:9], v[6:7]
	v_rcp_f64_e32 v[18:19], v[14:15]
	s_delay_alu instid0(VALU_DEP_2) | instskip(NEXT) | instid1(TRANS32_DEP_2)
	v_rcp_f64_e32 v[20:21], v[16:17]
	v_fma_f64 v[22:23], -v[14:15], v[18:19], 1.0
	s_delay_alu instid0(TRANS32_DEP_1) | instskip(NEXT) | instid1(VALU_DEP_2)
	v_fma_f64 v[24:25], -v[16:17], v[20:21], 1.0
	v_fmac_f64_e32 v[18:19], v[18:19], v[22:23]
	s_delay_alu instid0(VALU_DEP_2) | instskip(NEXT) | instid1(VALU_DEP_2)
	v_fmac_f64_e32 v[20:21], v[20:21], v[24:25]
	v_fma_f64 v[22:23], -v[14:15], v[18:19], 1.0
	s_delay_alu instid0(VALU_DEP_2) | instskip(NEXT) | instid1(VALU_DEP_2)
	v_fma_f64 v[24:25], -v[16:17], v[20:21], 1.0
	v_fmac_f64_e32 v[18:19], v[18:19], v[22:23]
	v_div_scale_f64 v[22:23], s4, v[12:13], v[8:9], v[12:13]
	s_delay_alu instid0(VALU_DEP_3) | instskip(NEXT) | instid1(VALU_DEP_3)
	v_fmac_f64_e32 v[20:21], v[20:21], v[24:25]
	v_mul_f64_e32 v[24:25], v[26:27], v[18:19]
	s_delay_alu instid0(VALU_DEP_2) | instskip(NEXT) | instid1(VALU_DEP_2)
	v_mul_f64_e32 v[28:29], v[22:23], v[20:21]
	v_fma_f64 v[14:15], -v[14:15], v[24:25], v[26:27]
	s_delay_alu instid0(VALU_DEP_2) | instskip(NEXT) | instid1(VALU_DEP_2)
	v_fma_f64 v[16:17], -v[16:17], v[28:29], v[22:23]
	v_div_fmas_f64 v[14:15], v[14:15], v[18:19], v[24:25]
	s_mov_b32 vcc_lo, s4
	s_delay_alu instid0(VALU_DEP_2) | instskip(NEXT) | instid1(VALU_DEP_2)
	v_div_fmas_f64 v[16:17], v[16:17], v[20:21], v[28:29]
	v_div_fixup_f64 v[6:7], v[14:15], v[8:9], v[6:7]
	s_delay_alu instid0(VALU_DEP_2) | instskip(SKIP_1) | instid1(VALU_DEP_2)
	v_div_fixup_f64 v[16:17], v[16:17], v[8:9], v[12:13]
	v_cvt_f64_f32_e32 v[8:9], s39
	v_mul_f64_e32 v[12:13], v[16:17], v[12:13]
	s_delay_alu instid0(VALU_DEP_1) | instskip(SKIP_1) | instid1(VALU_DEP_1)
	v_fma_f64 v[6:7], v[6:7], v[8:9], -v[12:13]
	s_wait_xcnt 0x0
	v_cvt_f32_f64_e32 v3, v[6:7]
.LBB3_97:                               ;   in Loop: Header=BB3_56 Depth=2
	s_cbranch_execnz .LBB3_99
.LBB3_98:                               ;   in Loop: Header=BB3_56 Depth=2
	s_delay_alu instid0(VALU_DEP_1) | instskip(SKIP_2) | instid1(VALU_DEP_3)
	v_sub_f32_e32 v2, s44, v4
	v_cvt_f64_f32_e32 v[4:5], s35
	v_cvt_f64_f32_e32 v[8:9], s37
	v_mul_f32_e32 v2, 0.5, v2
	s_delay_alu instid0(VALU_DEP_1) | instskip(NEXT) | instid1(VALU_DEP_1)
	v_cvt_f64_f32_e32 v[6:7], v2
	v_div_scale_f64 v[12:13], null, v[6:7], v[6:7], v[4:5]
	s_delay_alu instid0(VALU_DEP_4) | instskip(SKIP_1) | instid1(VALU_DEP_3)
	v_div_scale_f64 v[14:15], null, v[6:7], v[6:7], v[8:9]
	v_div_scale_f64 v[24:25], vcc_lo, v[4:5], v[6:7], v[4:5]
	v_rcp_f64_e32 v[16:17], v[12:13]
	s_delay_alu instid0(VALU_DEP_2) | instskip(NEXT) | instid1(TRANS32_DEP_2)
	v_rcp_f64_e32 v[18:19], v[14:15]
	v_fma_f64 v[20:21], -v[12:13], v[16:17], 1.0
	s_delay_alu instid0(TRANS32_DEP_1) | instskip(NEXT) | instid1(VALU_DEP_2)
	v_fma_f64 v[22:23], -v[14:15], v[18:19], 1.0
	v_fmac_f64_e32 v[16:17], v[16:17], v[20:21]
	s_delay_alu instid0(VALU_DEP_2) | instskip(NEXT) | instid1(VALU_DEP_2)
	v_fmac_f64_e32 v[18:19], v[18:19], v[22:23]
	v_fma_f64 v[20:21], -v[12:13], v[16:17], 1.0
	s_delay_alu instid0(VALU_DEP_2) | instskip(NEXT) | instid1(VALU_DEP_2)
	v_fma_f64 v[22:23], -v[14:15], v[18:19], 1.0
	v_fmac_f64_e32 v[16:17], v[16:17], v[20:21]
	v_div_scale_f64 v[20:21], s4, v[8:9], v[6:7], v[8:9]
	s_delay_alu instid0(VALU_DEP_3) | instskip(NEXT) | instid1(VALU_DEP_3)
	v_fmac_f64_e32 v[18:19], v[18:19], v[22:23]
	v_mul_f64_e32 v[22:23], v[24:25], v[16:17]
	s_delay_alu instid0(VALU_DEP_2) | instskip(NEXT) | instid1(VALU_DEP_2)
	v_mul_f64_e32 v[26:27], v[20:21], v[18:19]
	v_fma_f64 v[12:13], -v[12:13], v[22:23], v[24:25]
	s_delay_alu instid0(VALU_DEP_2) | instskip(NEXT) | instid1(VALU_DEP_2)
	v_fma_f64 v[14:15], -v[14:15], v[26:27], v[20:21]
	v_div_fmas_f64 v[12:13], v[12:13], v[16:17], v[22:23]
	s_mov_b32 vcc_lo, s4
	s_delay_alu instid0(VALU_DEP_2) | instskip(NEXT) | instid1(VALU_DEP_2)
	v_div_fmas_f64 v[14:15], v[14:15], v[18:19], v[26:27]
	v_div_fixup_f64 v[4:5], v[12:13], v[6:7], v[4:5]
	s_delay_alu instid0(VALU_DEP_2) | instskip(SKIP_1) | instid1(VALU_DEP_2)
	v_div_fixup_f64 v[14:15], v[14:15], v[6:7], v[8:9]
	v_cvt_f64_f32_e32 v[6:7], s39
	v_mul_f64_e32 v[8:9], v[14:15], v[8:9]
	s_delay_alu instid0(VALU_DEP_1) | instskip(SKIP_1) | instid1(VALU_DEP_1)
	v_fma_f64 v[4:5], v[4:5], v[6:7], -v[8:9]
	s_wait_xcnt 0x0
	v_cvt_f32_f64_e32 v3, v[4:5]
.LBB3_99:                               ;   in Loop: Header=BB3_56 Depth=2
	s_ashr_i32 s39, s38, 31
	global_store_b32 v10, v2, s[40:41]
	s_lshl_b64 s[38:39], s[38:39], 2
	s_add_co_i32 s36, s36, 2
	s_add_nc_u64 s[38:39], s[6:7], s[38:39]
	s_clause 0x1
	global_store_b32 v10, v3, s[38:39]
	global_store_b32 v10, v10, s[42:43]
	s_cbranch_execz .LBB3_55
	s_branch .LBB3_54
.LBB3_100:                              ;   in Loop: Header=BB3_3 Depth=1
	s_and_not1_b32 vcc_lo, exec_lo, s4
	s_cbranch_vccnz .LBB3_53
.LBB3_101:                              ;   in Loop: Header=BB3_3 Depth=1
	s_and_b32 vcc_lo, exec_lo, s3
	s_cbranch_vccz .LBB3_114
.LBB3_102:                              ;   in Loop: Header=BB3_3 Depth=1
	s_mov_b32 s55, s53
	s_and_not1_b32 vcc_lo, exec_lo, s27
	s_cbranch_vccnz .LBB3_106
.LBB3_103:                              ;   in Loop: Header=BB3_3 Depth=1
	global_load_b32 v3, v10, s[30:31]
	v_div_scale_f32 v2, null, s54, s54, s15
	s_delay_alu instid0(VALU_DEP_1)
	v_rcp_f32_e32 v4, v2
	v_nop
	v_xor_b32_e32 v2, 0x80000000, v2
	s_delay_alu instid0(TRANS32_DEP_1) | instid1(VALU_DEP_1)
	v_fma_f32 v5, v2, v4, 1.0
	s_delay_alu instid0(VALU_DEP_1) | instskip(SKIP_1) | instid1(VALU_DEP_1)
	v_fmac_f32_e32 v4, v5, v4
	v_div_scale_f32 v5, vcc_lo, s15, s54, s15
	v_mul_f32_e32 v6, v5, v4
	s_delay_alu instid0(VALU_DEP_1) | instskip(NEXT) | instid1(VALU_DEP_1)
	v_fma_f32 v7, v2, v6, v5
	v_fmac_f32_e32 v6, v7, v4
	s_delay_alu instid0(VALU_DEP_1) | instskip(NEXT) | instid1(VALU_DEP_1)
	v_fmac_f32_e32 v5, v2, v6
	v_div_fmas_f32 v2, v5, v4, v6
	s_and_b32 vcc_lo, exec_lo, s2
	s_delay_alu instid0(VALU_DEP_1) | instskip(SKIP_1) | instid1(VALU_DEP_1)
	v_div_fixup_f32 v2, v2, s54, s15
	s_wait_loadcnt 0x0
	v_mul_f32_e32 v3, v2, v3
	global_store_b32 v10, v3, s[30:31]
	s_cbranch_vccnz .LBB3_106
; %bb.104:                              ;   in Loop: Header=BB3_3 Depth=1
	s_add_nc_u64 s[4:5], s[6:7], s[28:29]
	s_add_nc_u64 s[34:35], s[8:9], s[28:29]
	s_mov_b32 s3, s24
.LBB3_105:                              ;   Parent Loop BB3_3 Depth=1
                                        ; =>  This Inner Loop Header: Depth=2
	global_load_b32 v3, v10, s[4:5]
	s_add_co_i32 s3, s3, 1
	s_delay_alu instid0(SALU_CYCLE_1)
	s_cmp_lt_i32 s3, s26
	s_wait_loadcnt 0x0
	v_mul_f32_e32 v3, v2, v3
	s_clause 0x1
	global_store_b32 v10, v3, s[4:5]
	global_load_b32 v3, v10, s[34:35]
	s_add_nc_u64 s[4:5], s[4:5], 4
	s_wait_loadcnt 0x0
	v_mul_f32_e32 v3, v2, v3
	global_store_b32 v10, v3, s[34:35]
	s_wait_xcnt 0x0
	s_add_nc_u64 s[34:35], s[34:35], 4
	s_cbranch_scc1 .LBB3_105
.LBB3_106:                              ;   in Loop: Header=BB3_3 Depth=1
	s_cmp_nlt_f32 s54, s14
	s_cbranch_scc1 .LBB3_110
; %bb.107:                              ;   in Loop: Header=BB3_3 Depth=1
	global_load_b32 v3, v10, s[30:31]
	v_div_scale_f32 v2, null, s54, s54, s14
	s_delay_alu instid0(VALU_DEP_1)
	v_rcp_f32_e32 v4, v2
	v_nop
	v_xor_b32_e32 v2, 0x80000000, v2
	s_delay_alu instid0(TRANS32_DEP_1) | instid1(VALU_DEP_1)
	v_fma_f32 v5, v2, v4, 1.0
	s_delay_alu instid0(VALU_DEP_1) | instskip(SKIP_1) | instid1(VALU_DEP_1)
	v_fmac_f32_e32 v4, v5, v4
	v_div_scale_f32 v5, vcc_lo, s14, s54, s14
	v_mul_f32_e32 v6, v5, v4
	s_delay_alu instid0(VALU_DEP_1) | instskip(NEXT) | instid1(VALU_DEP_1)
	v_fma_f32 v7, v2, v6, v5
	v_fmac_f32_e32 v6, v7, v4
	s_delay_alu instid0(VALU_DEP_1) | instskip(NEXT) | instid1(VALU_DEP_1)
	v_fmac_f32_e32 v5, v2, v6
	v_div_fmas_f32 v2, v5, v4, v6
	s_and_b32 vcc_lo, exec_lo, s2
	s_delay_alu instid0(VALU_DEP_1) | instskip(SKIP_1) | instid1(VALU_DEP_1)
	v_div_fixup_f32 v2, v2, s54, s14
	s_wait_loadcnt 0x0
	v_mul_f32_e32 v3, v2, v3
	global_store_b32 v10, v3, s[30:31]
	s_cbranch_vccnz .LBB3_110
; %bb.108:                              ;   in Loop: Header=BB3_3 Depth=1
	s_add_nc_u64 s[2:3], s[6:7], s[28:29]
	s_add_nc_u64 s[4:5], s[8:9], s[28:29]
.LBB3_109:                              ;   Parent Loop BB3_3 Depth=1
                                        ; =>  This Inner Loop Header: Depth=2
	global_load_b32 v3, v10, s[2:3]
	s_add_co_i32 s24, s24, 1
	s_delay_alu instid0(SALU_CYCLE_1)
	s_cmp_lt_i32 s24, s26
	s_wait_loadcnt 0x0
	v_mul_f32_e32 v3, v2, v3
	s_clause 0x1
	global_store_b32 v10, v3, s[2:3]
	global_load_b32 v3, v10, s[4:5]
	s_add_nc_u64 s[2:3], s[2:3], 4
	s_wait_loadcnt 0x0
	v_mul_f32_e32 v3, v2, v3
	global_store_b32 v10, v3, s[4:5]
	s_wait_xcnt 0x0
	s_add_nc_u64 s[4:5], s[4:5], 4
	s_cbranch_scc1 .LBB3_109
.LBB3_110:                              ;   in Loop: Header=BB3_3 Depth=1
	s_cmp_ge_i32 s55, s12
	s_cselect_b32 s2, -1, 0
	s_cmp_ge_i32 s52, s33
	s_cselect_b32 s3, -1, 0
	s_delay_alu instid0(SALU_CYCLE_1)
	s_or_b32 s2, s3, s2
.LBB3_111:                              ;   in Loop: Header=BB3_3 Depth=1
	s_delay_alu instid0(SALU_CYCLE_1)
	s_and_b32 vcc_lo, exec_lo, s2
	s_mov_b32 s53, s55
	s_cbranch_vccz .LBB3_3
	s_branch .LBB3_158
.LBB3_112:                              ;   in Loop: Header=BB3_114 Depth=2
	s_cmp_lt_i32 s34, s25
	s_cselect_b32 s3, -1, 0
	s_cmp_ge_i32 s53, s12
	s_wait_xcnt 0x0
	s_cselect_b32 s4, -1, 0
	s_delay_alu instid0(SALU_CYCLE_1)
	s_or_b32 s35, s3, s4
.LBB3_113:                              ;   in Loop: Header=BB3_114 Depth=2
	s_delay_alu instid0(SALU_CYCLE_1)
	s_and_not1_b32 vcc_lo, exec_lo, s35
	s_cbranch_vccz .LBB3_102
.LBB3_114:                              ;   Parent Loop BB3_3 Depth=1
                                        ; =>  This Loop Header: Depth=2
                                        ;       Child Loop BB3_117 Depth 3
                                        ;       Child Loop BB3_129 Depth 3
	s_ashr_i32 s35, s34, 31
	s_wait_xcnt 0x0
	s_min_i32 s4, s25, s34
	s_wait_xcnt 0x1
	s_lshl_b64 s[38:39], s[34:35], 2
	s_mov_b32 s3, s34
	s_wait_xcnt 0x0
	s_add_nc_u64 s[40:41], s[6:7], s[38:39]
	s_add_nc_u64 s[36:37], s[22:23], s[38:39]
	s_mov_b32 s5, -1
	s_cmp_le_i32 s3, s25
	s_mov_b32 s42, -1
                                        ; implicit-def: $sgpr35
	s_cbranch_scc1 .LBB3_117
	s_branch .LBB3_116
.LBB3_115:                              ;   in Loop: Header=BB3_117 Depth=3
	s_mov_b32 s3, s35
	s_mov_b32 s5, -1
	s_cmp_le_i32 s3, s25
	s_mov_b32 s42, -1
                                        ; implicit-def: $sgpr35
	s_cbranch_scc1 .LBB3_117
.LBB3_116:                              ;   in Loop: Header=BB3_114 Depth=2
	s_clause 0x1
	global_load_b64 v[2:3], v10, s[40:41] offset:-4
	global_load_b32 v4, v10, s[36:37] offset:-8
	s_add_co_i32 s35, s3, -1
	s_wait_xcnt 0x1
	s_add_nc_u64 s[40:41], s[40:41], -4
	s_wait_xcnt 0x0
	s_add_nc_u64 s[36:37], s[36:37], -4
	s_mov_b32 s5, 0
	s_wait_loadcnt 0x1
	v_mul_f32_e32 v2, v3, v2
	s_wait_loadcnt 0x0
	v_and_b32_e32 v3, 0x7fffffff, v4
	s_delay_alu instid0(VALU_DEP_2) | instskip(NEXT) | instid1(VALU_DEP_1)
	v_and_b32_e32 v2, 0x7fffffff, v2
	v_mul_f32_e32 v2, s51, v2
	s_delay_alu instid0(VALU_DEP_1)
	v_cmp_le_f32_e64 s42, v3, v2
.LBB3_117:                              ;   Parent Loop BB3_3 Depth=1
                                        ;     Parent Loop BB3_114 Depth=2
                                        ; =>    This Inner Loop Header: Depth=3
	s_delay_alu instid0(VALU_DEP_1)
	s_and_not1_b32 vcc_lo, exec_lo, s42
	s_cbranch_vccnz .LBB3_115
; %bb.118:                              ;   in Loop: Header=BB3_114 Depth=2
	s_and_not1_b32 vcc_lo, exec_lo, s5
	s_cbranch_vccz .LBB3_120
; %bb.119:                              ;   in Loop: Header=BB3_114 Depth=2
	s_mov_b32 s4, s3
	global_store_b32 v10, v10, s[36:37] offset:-4
.LBB3_120:                              ;   in Loop: Header=BB3_114 Depth=2
	s_add_co_i32 s3, s34, -1
	s_cmp_eq_u32 s4, s34
	s_mov_b32 s35, -1
	s_cbranch_scc1 .LBB3_135
; %bb.121:                              ;   in Loop: Header=BB3_114 Depth=2
	s_wait_xcnt 0x0
	s_add_nc_u64 s[36:37], s[6:7], s[38:39]
	s_cmp_lg_u32 s4, s3
	global_load_b32 v2, v10, s[36:37]
	s_wait_loadcnt 0x0
	v_readfirstlane_b32 s44, v2
	s_cbranch_scc0 .LBB3_136
; %bb.122:                              ;   in Loop: Header=BB3_114 Depth=2
	s_mov_b32 s45, 0
	s_cmp_lg_u32 s53, s12
	s_mov_b32 s5, s12
	s_mov_b32 s3, 0
	s_cbranch_scc0 .LBB3_137
; %bb.123:                              ;   in Loop: Header=BB3_114 Depth=2
	s_add_nc_u64 s[38:39], s[10:11], s[38:39]
	s_clause 0x1
	global_load_b32 v2, v10, s[38:39] offset:-4
	global_load_b32 v3, v10, s[36:37] offset:-4
	s_wait_loadcnt 0x1
	v_readfirstlane_b32 s3, v2
	v_cmp_gt_f32_e32 vcc_lo, 0xf800000, v2
	s_mul_f32 s5, s3, 0x4f800000
	s_cmp_lt_f32 s3, 0xf800000
	s_delay_alu instid0(SALU_CYCLE_2) | instskip(NEXT) | instid1(SALU_CYCLE_1)
	s_cselect_b32 s3, s5, s3
	v_s_sqrt_f32 s5, s3
	s_mov_b32 s41, s3
	s_delay_alu instid0(TRANS32_DEP_1) | instskip(NEXT) | instid1(SALU_CYCLE_1)
	s_add_co_i32 s40, s5, -1
	s_xor_b32 s42, s40, 0x80000000
	s_delay_alu instid0(SALU_CYCLE_1) | instskip(SKIP_1) | instid1(SALU_CYCLE_2)
	s_fmac_f32 s41, s42, s5
	s_mov_b32 s42, s3
	s_cmp_le_f32 s41, 0
	s_cselect_b32 s40, s40, s5
	s_add_co_i32 s41, s5, 1
	s_delay_alu instid0(SALU_CYCLE_1) | instskip(NEXT) | instid1(SALU_CYCLE_1)
	s_xor_b32 s43, s41, 0x80000000
	s_fmac_f32 s42, s43, s5
	s_delay_alu instid0(SALU_CYCLE_3) | instskip(SKIP_1) | instid1(SALU_CYCLE_1)
	s_cmp_gt_f32 s42, 0
	s_cselect_b32 s5, s41, s40
	s_mul_f32 s40, s5, 0x37800000
	s_delay_alu instid0(SALU_CYCLE_3) | instskip(SKIP_3) | instid1(VALU_DEP_1)
	v_dual_mov_b32 v4, s4 :: v_dual_mov_b32 v5, s40
	global_load_b32 v4, v4, s[6:7] scale_offset
	v_cndmask_b32_e32 v2, s5, v5, vcc_lo
	v_cmp_class_f32_e64 s5, s3, 0x260
	v_cndmask_b32_e64 v2, v2, s3, s5
	s_wait_loadcnt 0x1
	s_delay_alu instid0(VALU_DEP_1) | instskip(NEXT) | instid1(VALU_DEP_1)
	v_dual_subrev_f32 v3, s44, v3 :: v_dual_add_f32 v5, v2, v2
	v_div_scale_f32 v6, null, v5, v5, v3
	v_div_scale_f32 v9, vcc_lo, v3, v5, v3
	s_delay_alu instid0(VALU_DEP_2)
	v_rcp_f32_e32 v7, v6
	v_nop
	v_xor_b32_e32 v6, 0x80000000, v6
	s_delay_alu instid0(TRANS32_DEP_1) | instid1(VALU_DEP_1)
	v_fma_f32 v8, v6, v7, 1.0
	s_delay_alu instid0(VALU_DEP_1) | instskip(NEXT) | instid1(VALU_DEP_1)
	v_fmac_f32_e32 v7, v8, v7
	v_mul_f32_e32 v8, v9, v7
	s_delay_alu instid0(VALU_DEP_1) | instskip(NEXT) | instid1(VALU_DEP_1)
	v_fma_f32 v11, v6, v8, v9
	v_fmac_f32_e32 v8, v11, v7
	s_delay_alu instid0(VALU_DEP_1) | instskip(NEXT) | instid1(VALU_DEP_1)
	v_fmac_f32_e32 v9, v6, v8
	v_div_fmas_f32 v6, v9, v7, v8
	s_delay_alu instid0(VALU_DEP_1) | instskip(NEXT) | instid1(VALU_DEP_1)
	v_div_fixup_f32 v3, v6, v5, v3
	v_readfirstlane_b32 s3, v3
	v_cmp_nle_f32_e32 vcc_lo, 0, v3
	s_fmaak_f32 s3, s3, s3, 0x3f800000
	s_delay_alu instid0(SALU_CYCLE_3) | instskip(SKIP_1) | instid1(SALU_CYCLE_2)
	s_mul_f32 s5, s3, 0x4f800000
	s_cmp_lt_f32 s3, 0xf800000
	s_cselect_b32 s5, s5, s3
	s_delay_alu instid0(SALU_CYCLE_1) | instskip(SKIP_1) | instid1(TRANS32_DEP_1)
	v_s_sqrt_f32 s40, s5
	s_mov_b32 s42, s5
	s_add_co_i32 s41, s40, -1
	s_delay_alu instid0(SALU_CYCLE_1) | instskip(NEXT) | instid1(SALU_CYCLE_1)
	s_xor_b32 s43, s41, 0x80000000
	s_fmac_f32 s42, s43, s40
	s_mov_b32 s43, s5
	s_delay_alu instid0(SALU_CYCLE_2) | instskip(SKIP_2) | instid1(SALU_CYCLE_1)
	s_cmp_le_f32 s42, 0
	s_cselect_b32 s41, s41, s40
	s_add_co_i32 s42, s40, 1
	s_xor_b32 s46, s42, 0x80000000
	s_delay_alu instid0(SALU_CYCLE_1) | instskip(SKIP_1) | instid1(SALU_CYCLE_2)
	s_fmac_f32 s43, s46, s40
	v_cmp_class_f32_e64 s40, s5, 0x260
	s_cmp_gt_f32 s43, 0
	s_cselect_b32 s41, s42, s41
	s_cmp_lt_f32 s3, 0xf800000
	s_mul_f32 s3, s41, 0x37800000
	s_delay_alu instid0(SALU_CYCLE_3) | instskip(SKIP_2) | instid1(SALU_CYCLE_1)
	s_cselect_b32 s3, s3, s41
	s_and_b32 s40, s40, exec_lo
	s_cselect_b32 s3, s5, s3
	s_or_b32 s5, s3, 0x80000000
	s_bitset0_b32 s3, 31
	v_mov_b32_e32 v5, s5
	s_cmp_ge_i32 s4, s34
	s_delay_alu instid0(VALU_DEP_1) | instskip(NEXT) | instid1(VALU_DEP_1)
	v_cndmask_b32_e32 v5, s3, v5, vcc_lo
	v_add_f32_e32 v3, v3, v5
	s_delay_alu instid0(VALU_DEP_1) | instskip(SKIP_1) | instid1(VALU_DEP_2)
	v_div_scale_f32 v5, null, v3, v3, v2
	v_div_scale_f32 v8, vcc_lo, v2, v3, v2
	v_rcp_f32_e32 v6, v5
	v_nop
	v_xor_b32_e32 v5, 0x80000000, v5
	s_delay_alu instid0(TRANS32_DEP_1) | instid1(VALU_DEP_1)
	v_fma_f32 v7, v5, v6, 1.0
	s_delay_alu instid0(VALU_DEP_1) | instskip(NEXT) | instid1(VALU_DEP_1)
	v_fmac_f32_e32 v6, v7, v6
	v_mul_f32_e32 v7, v8, v6
	s_delay_alu instid0(VALU_DEP_1) | instskip(NEXT) | instid1(VALU_DEP_1)
	v_fma_f32 v9, v5, v7, v8
	v_fmac_f32_e32 v7, v9, v6
	s_delay_alu instid0(VALU_DEP_1) | instskip(NEXT) | instid1(VALU_DEP_1)
	v_fmac_f32_e32 v8, v5, v7
	v_div_fmas_f32 v5, v8, v6, v7
	s_delay_alu instid0(VALU_DEP_1) | instskip(NEXT) | instid1(VALU_DEP_1)
	v_div_fixup_f32 v2, v5, v3, v2
	v_dual_mov_b32 v3, 0 :: v_dual_sub_f32 v11, s44, v2
	s_wait_loadcnt 0x0
	s_delay_alu instid0(VALU_DEP_1) | instskip(NEXT) | instid1(VALU_DEP_1)
	v_sub_f32_e32 v9, v4, v11
	v_mul_f32_e32 v2, v9, v9
	s_cbranch_scc1 .LBB3_143
; %bb.124:                              ;   in Loop: Header=BB3_114 Depth=2
	s_ashr_i32 s5, s4, 31
	s_delay_alu instid0(SALU_CYCLE_1) | instskip(NEXT) | instid1(SALU_CYCLE_1)
	s_lshl_b64 s[40:41], s[4:5], 2
	s_add_nc_u64 s[42:43], s[10:11], s[40:41]
	s_add_nc_u64 s[40:41], s[6:7], s[40:41]
	s_clause 0x1
	global_load_b32 v12, v10, s[42:43]
	global_load_b32 v13, v10, s[40:41] offset:4
	s_wait_loadcnt 0x1
	s_wait_xcnt 0x2
	v_add_f32_e32 v4, v2, v12
	s_delay_alu instid0(VALU_DEP_1) | instskip(NEXT) | instid1(VALU_DEP_1)
	v_div_scale_f32 v3, null, v4, v4, v12
	v_rcp_f32_e32 v6, v3
	v_nop
	v_xor_b32_e32 v3, 0x80000000, v3
	s_delay_alu instid0(TRANS32_DEP_1) | instid1(VALU_DEP_1)
	v_fma_f32 v8, v3, v6, 1.0
	s_delay_alu instid0(VALU_DEP_1) | instskip(SKIP_3) | instid1(VALU_DEP_3)
	v_fmac_f32_e32 v6, v8, v6
	v_div_scale_f32 v5, null, v4, v4, v2
	v_div_scale_f32 v15, vcc_lo, v12, v4, v12
	v_div_scale_f32 v8, s3, v2, v4, v2
	v_rcp_f32_e32 v7, v5
	v_nop
	v_xor_b32_e32 v5, 0x80000000, v5
	s_delay_alu instid0(TRANS32_DEP_1) | instid1(VALU_DEP_1)
	v_fma_f32 v14, v5, v7, 1.0
	s_delay_alu instid0(VALU_DEP_1) | instskip(NEXT) | instid1(VALU_DEP_1)
	v_dual_fmac_f32 v7, v14, v7 :: v_dual_mul_f32 v14, v15, v6
	v_dual_mul_f32 v16, v8, v7 :: v_dual_fma_f32 v17, v3, v14, v15
	s_delay_alu instid0(VALU_DEP_1) | instskip(NEXT) | instid1(VALU_DEP_1)
	v_fmac_f32_e32 v14, v17, v6
	v_dual_fma_f32 v18, v5, v16, v8 :: v_dual_fmac_f32 v15, v3, v14
	s_delay_alu instid0(VALU_DEP_1) | instskip(NEXT) | instid1(VALU_DEP_2)
	v_fmac_f32_e32 v16, v18, v7
	v_div_fmas_f32 v3, v15, v6, v14
	s_mov_b32 vcc_lo, s3
	s_delay_alu instid0(VALU_DEP_1) | instskip(NEXT) | instid1(VALU_DEP_3)
	v_div_fixup_f32 v3, v3, v4, v12
	v_fmac_f32_e32 v8, v5, v16
	s_delay_alu instid0(VALU_DEP_1) | instskip(SKIP_2) | instid1(VALU_DEP_2)
	v_div_fmas_f32 v5, v8, v7, v16
	s_wait_loadcnt 0x0
	v_sub_f32_e32 v8, v13, v11
	v_div_fixup_f32 v4, v5, v4, v2
	v_dual_mov_b32 v5, v3 :: v_dual_mul_f32 v2, v9, v3
	s_delay_alu instid0(VALU_DEP_2) | instskip(NEXT) | instid1(VALU_DEP_2)
	v_cmp_eq_f32_e32 vcc_lo, 0, v4
	v_pk_fma_f32 v[6:7], v[8:9], v[4:5], v[2:3] op_sel_hi:[1,1,0] neg_lo:[0,0,1] neg_hi:[0,0,1]
	s_delay_alu instid0(VALU_DEP_1) | instskip(NEXT) | instid1(VALU_DEP_1)
	v_sub_f32_e32 v2, v13, v6
	v_add_f32_e32 v2, v9, v2
	global_store_b32 v10, v2, s[40:41]
	s_cbranch_vccnz .LBB3_126
; %bb.125:                              ;   in Loop: Header=BB3_114 Depth=2
	s_wait_xcnt 0x0
	v_mul_f32_e32 v2, v6, v6
	s_delay_alu instid0(VALU_DEP_1) | instskip(NEXT) | instid1(VALU_DEP_1)
	v_div_scale_f32 v5, null, v4, v4, v2
	v_rcp_f32_e32 v7, v5
	v_nop
	v_xor_b32_e32 v5, 0x80000000, v5
	s_delay_alu instid0(TRANS32_DEP_1) | instid1(VALU_DEP_1)
	v_fma_f32 v8, v5, v7, 1.0
	s_delay_alu instid0(VALU_DEP_1) | instskip(SKIP_1) | instid1(VALU_DEP_1)
	v_fmac_f32_e32 v7, v8, v7
	v_div_scale_f32 v8, vcc_lo, v2, v4, v2
	v_mul_f32_e32 v9, v8, v7
	s_delay_alu instid0(VALU_DEP_1) | instskip(NEXT) | instid1(VALU_DEP_1)
	v_fma_f32 v12, v5, v9, v8
	v_fmac_f32_e32 v9, v12, v7
	s_delay_alu instid0(VALU_DEP_1) | instskip(NEXT) | instid1(VALU_DEP_1)
	v_fmac_f32_e32 v8, v5, v9
	v_div_fmas_f32 v5, v8, v7, v9
	s_delay_alu instid0(VALU_DEP_1)
	v_div_fixup_f32 v12, v5, v4, v2
.LBB3_126:                              ;   in Loop: Header=BB3_114 Depth=2
	s_wait_xcnt 0x0
	s_add_co_i32 s40, s4, 1
	s_delay_alu instid0(SALU_CYCLE_1)
	s_cmp_ge_i32 s40, s34
	s_cbranch_scc1 .LBB3_142
; %bb.127:                              ;   in Loop: Header=BB3_114 Depth=2
	s_ashr_i32 s41, s40, 31
	v_mov_b32_e32 v9, v6
	s_lshl_b64 s[42:43], s[40:41], 2
	s_mov_b32 s5, 1
	s_add_nc_u64 s[40:41], s[8:9], s[42:43]
	s_add_nc_u64 s[42:43], s[20:21], s[42:43]
	global_load_b32 v5, v10, s[40:41]
	s_cmp_eq_u32 s5, 0
	s_wait_loadcnt 0x0
	v_add_f32_e32 v2, v12, v5
	s_cbranch_scc1 .LBB3_129
.LBB3_128:                              ;   in Loop: Header=BB3_114 Depth=2
	s_delay_alu instid0(VALU_DEP_1)
	v_mul_f32_e32 v3, v3, v2
	global_store_b32 v10, v3, s[40:41] offset:-4
.LBB3_129:                              ;   Parent Loop BB3_3 Depth=1
                                        ;     Parent Loop BB3_114 Depth=2
                                        ; =>    This Inner Loop Header: Depth=3
	global_load_b32 v13, v10, s[42:43]
	s_wait_xcnt 0x1
	v_div_scale_f32 v3, null, v2, v2, v5
	v_div_scale_f32 v6, null, v2, v2, v12
	v_div_scale_f32 v16, vcc_lo, v5, v2, v5
	s_delay_alu instid0(VALU_DEP_3)
	v_rcp_f32_e32 v7, v3
	v_nop
	v_xor_b32_e32 v3, 0x80000000, v3
	v_rcp_f32_e32 v8, v6
	v_nop
	v_xor_b32_e32 v6, 0x80000000, v6
	s_delay_alu instid0(TRANS32_DEP_2) | instid1(VALU_DEP_3)
	v_fma_f32 v14, v3, v7, 1.0
	s_delay_alu instid0(TRANS32_DEP_1) | instid1(VALU_DEP_2)
	v_fma_f32 v15, v6, v8, 1.0
	s_delay_alu instid0(VALU_DEP_2) | instskip(SKIP_1) | instid1(VALU_DEP_2)
	v_fmac_f32_e32 v7, v14, v7
	v_div_scale_f32 v14, s3, v12, v2, v12
	v_dual_fmac_f32 v8, v15, v8 :: v_dual_mul_f32 v15, v16, v7
	s_delay_alu instid0(VALU_DEP_1) | instskip(NEXT) | instid1(VALU_DEP_1)
	v_dual_mul_f32 v17, v14, v8 :: v_dual_fma_f32 v18, v3, v15, v16
	v_fma_f32 v19, v6, v17, v14
	s_delay_alu instid0(VALU_DEP_1) | instskip(NEXT) | instid1(VALU_DEP_1)
	v_dual_fmac_f32 v15, v18, v7 :: v_dual_fmac_f32 v17, v19, v8
	v_dual_fmac_f32 v16, v3, v15 :: v_dual_fmac_f32 v14, v6, v17
	s_delay_alu instid0(VALU_DEP_1) | instskip(SKIP_1) | instid1(VALU_DEP_2)
	v_div_fmas_f32 v3, v16, v7, v15
	s_mov_b32 vcc_lo, s3
	v_div_fmas_f32 v6, v14, v8, v17
	s_delay_alu instid0(VALU_DEP_2) | instskip(NEXT) | instid1(VALU_DEP_2)
	v_div_fixup_f32 v3, v3, v2, v5
	v_div_fixup_f32 v2, v6, v2, v12
	s_delay_alu instid0(VALU_DEP_2) | instskip(NEXT) | instid1(VALU_DEP_2)
	v_mul_f32_e32 v6, v9, v3
	v_cmp_eq_f32_e32 vcc_lo, 0, v2
	s_and_b32 vcc_lo, exec_lo, vcc_lo
	s_wait_loadcnt 0x0
	v_sub_f32_e32 v8, v13, v11
	s_delay_alu instid0(VALU_DEP_1) | instskip(NEXT) | instid1(VALU_DEP_1)
	v_pk_fma_f32 v[6:7], v[8:9], v[2:3], v[6:7] op_sel_hi:[1,1,0] neg_lo:[0,0,1] neg_hi:[0,0,1]
	v_sub_f32_e32 v7, v13, v6
	s_delay_alu instid0(VALU_DEP_1)
	v_add_f32_e32 v7, v9, v7
	global_store_b32 v10, v7, s[42:43] offset:-4
	s_cbranch_vccz .LBB3_134
; %bb.130:                              ;   in Loop: Header=BB3_129 Depth=3
	v_mul_f32_e32 v12, v4, v5
	s_cbranch_execnz .LBB3_132
.LBB3_131:                              ;   in Loop: Header=BB3_129 Depth=3
	v_mul_f32_e32 v4, v6, v6
	s_delay_alu instid0(VALU_DEP_1) | instskip(SKIP_1) | instid1(VALU_DEP_1)
	v_div_scale_f32 v5, null, v2, v2, v4
	s_wait_xcnt 0x0
	v_rcp_f32_e32 v7, v5
	v_nop
	v_xor_b32_e32 v5, 0x80000000, v5
	s_delay_alu instid0(TRANS32_DEP_1) | instid1(VALU_DEP_1)
	v_fma_f32 v8, v5, v7, 1.0
	s_delay_alu instid0(VALU_DEP_1) | instskip(SKIP_1) | instid1(VALU_DEP_1)
	v_fmac_f32_e32 v7, v8, v7
	v_div_scale_f32 v8, vcc_lo, v4, v2, v4
	v_mul_f32_e32 v9, v8, v7
	s_delay_alu instid0(VALU_DEP_1) | instskip(NEXT) | instid1(VALU_DEP_1)
	v_fma_f32 v12, v5, v9, v8
	v_fmac_f32_e32 v9, v12, v7
	s_delay_alu instid0(VALU_DEP_1) | instskip(NEXT) | instid1(VALU_DEP_1)
	v_fmac_f32_e32 v8, v5, v9
	v_div_fmas_f32 v5, v8, v7, v9
	s_delay_alu instid0(VALU_DEP_1)
	v_div_fixup_f32 v12, v5, v2, v4
.LBB3_132:                              ;   in Loop: Header=BB3_129 Depth=3
	s_add_co_i32 s5, s5, 1
	s_add_nc_u64 s[40:41], s[40:41], 4
	s_add_co_i32 s3, s4, s5
	s_wait_xcnt 0x0
	s_add_nc_u64 s[42:43], s[42:43], 4
	s_cmp_ge_i32 s3, s34
	s_cbranch_scc1 .LBB3_142
; %bb.133:                              ;   in Loop: Header=BB3_129 Depth=3
	v_dual_mov_b32 v4, v2 :: v_dual_mov_b32 v9, v6
	global_load_b32 v5, v10, s[40:41]
	s_cmp_eq_u32 s5, 0
	s_wait_loadcnt 0x0
	v_add_f32_e32 v2, v12, v5
	s_cbranch_scc0 .LBB3_128
	s_branch .LBB3_129
.LBB3_134:                              ;   in Loop: Header=BB3_129 Depth=3
                                        ; implicit-def: $vgpr12
	s_branch .LBB3_131
.LBB3_135:                              ;   in Loop: Header=BB3_114 Depth=2
	s_mov_b32 s34, s3
	s_cbranch_execnz .LBB3_112
	s_branch .LBB3_113
.LBB3_136:                              ;   in Loop: Header=BB3_114 Depth=2
	s_mov_b32 s45, -1
	s_mov_b32 s3, 0
                                        ; implicit-def: $sgpr5
.LBB3_137:                              ;   in Loop: Header=BB3_114 Depth=2
	s_and_b32 vcc_lo, exec_lo, s45
	s_cbranch_vccz .LBB3_144
.LBB3_138:                              ;   in Loop: Header=BB3_114 Depth=2
	s_wait_xcnt 0x1
	v_mov_b32_e32 v2, s4
	s_clause 0x1
	global_load_b32 v3, v2, s[10:11] scale_offset
	global_load_b32 v4, v2, s[6:7] scale_offset
	s_wait_loadcnt 0x1
	v_readfirstlane_b32 s3, v3
	s_mul_f32 s5, s3, 0x4f800000
	s_cmp_lt_f32 s3, 0xf800000
	s_delay_alu instid0(SALU_CYCLE_2) | instskip(NEXT) | instid1(SALU_CYCLE_1)
	s_cselect_b32 s5, s5, s3
	v_s_sqrt_f32 s38, s5
	s_mov_b32 s40, s5
	s_delay_alu instid0(TRANS32_DEP_1) | instskip(NEXT) | instid1(SALU_CYCLE_1)
	s_add_co_i32 s39, s38, -1
	s_xor_b32 s41, s39, 0x80000000
	s_delay_alu instid0(SALU_CYCLE_1) | instskip(SKIP_1) | instid1(SALU_CYCLE_2)
	s_fmac_f32 s40, s41, s38
	s_mov_b32 s41, s5
	s_cmp_le_f32 s40, 0
	s_cselect_b32 s39, s39, s38
	s_add_co_i32 s40, s38, 1
	s_delay_alu instid0(SALU_CYCLE_1) | instskip(NEXT) | instid1(SALU_CYCLE_1)
	s_xor_b32 s42, s40, 0x80000000
	s_fmac_f32 s41, s42, s38
	s_delay_alu instid0(SALU_CYCLE_3)
	s_cmp_gt_f32 s41, 0
	s_cselect_b32 s38, s40, s39
	s_cmp_lt_f32 s3, 0xf800000
	s_mul_f32 s39, s38, 0x37800000
	v_cmp_class_f32_e64 s40, s5, 0x260
	s_wait_loadcnt 0x0
	v_readfirstlane_b32 s3, v4
	s_cselect_b32 s38, s39, s38
	s_and_b32 s39, s40, exec_lo
	s_cselect_b32 s5, s5, s38
	s_sub_f32 s39, s44, s3
	s_add_f32 s40, s5, s5
	s_delay_alu instid0(SALU_CYCLE_2) | instskip(NEXT) | instid1(SALU_CYCLE_2)
	s_and_b32 s38, s39, 0x7fffffff
	s_and_b32 s41, s40, 0x7fffffff
	s_delay_alu instid0(SALU_CYCLE_1)
	s_cmp_ngt_f32 s38, s41
	s_cbranch_scc0 .LBB3_141
; %bb.139:                              ;   in Loop: Header=BB3_114 Depth=2
	s_cmp_nlt_f32 s38, s41
	s_cbranch_scc0 .LBB3_145
; %bb.140:                              ;   in Loop: Header=BB3_114 Depth=2
	s_wait_xcnt 0x0
	v_cvt_f64_f32_e32 v[2:3], s41
	s_delay_alu instid0(VALU_DEP_1) | instskip(NEXT) | instid1(VALU_DEP_1)
	v_mul_f64_e32 v[2:3], 0x3ff6a09e667f3bcd, v[2:3]
	v_cvt_f32_f64_e32 v4, v[2:3]
	s_cbranch_execz .LBB3_146
	s_branch .LBB3_147
.LBB3_141:                              ;   in Loop: Header=BB3_114 Depth=2
                                        ; implicit-def: $vgpr4
	s_branch .LBB3_148
.LBB3_142:                              ;   in Loop: Header=BB3_114 Depth=2
	v_dual_mov_b32 v9, v6 :: v_dual_mov_b32 v2, v12
.LBB3_143:                              ;   in Loop: Header=BB3_114 Depth=2
	s_delay_alu instid0(VALU_DEP_1)
	v_dual_mul_f32 v2, v2, v3 :: v_dual_add_f32 v3, v11, v9
	s_add_co_i32 s5, s53, 1
	s_mov_b32 s3, -1
	s_clause 0x1
	global_store_b32 v10, v2, s[38:39] offset:-4
	global_store_b32 v10, v3, s[36:37]
	s_and_b32 vcc_lo, exec_lo, s45
	s_cbranch_vccnz .LBB3_138
.LBB3_144:                              ;   in Loop: Header=BB3_114 Depth=2
	s_mov_b32 s53, s5
	s_and_b32 vcc_lo, exec_lo, s3
	s_cbranch_vccz .LBB3_113
	s_branch .LBB3_112
.LBB3_145:                              ;   in Loop: Header=BB3_114 Depth=2
                                        ; implicit-def: $vgpr4
.LBB3_146:                              ;   in Loop: Header=BB3_114 Depth=2
	s_wait_xcnt 0x0
	v_div_scale_f32 v2, null, s41, s41, s38
	v_div_scale_f32 v5, vcc_lo, s38, s41, s38
	s_delay_alu instid0(VALU_DEP_2)
	v_rcp_f32_e32 v3, v2
	v_nop
	v_xor_b32_e32 v2, 0x80000000, v2
	s_delay_alu instid0(TRANS32_DEP_1) | instid1(VALU_DEP_1)
	v_fma_f32 v4, v2, v3, 1.0
	s_delay_alu instid0(VALU_DEP_1) | instskip(NEXT) | instid1(VALU_DEP_1)
	v_fmac_f32_e32 v3, v4, v3
	v_mul_f32_e32 v4, v5, v3
	s_delay_alu instid0(VALU_DEP_1) | instskip(NEXT) | instid1(VALU_DEP_1)
	v_fma_f32 v6, v2, v4, v5
	v_fmac_f32_e32 v4, v6, v3
	s_delay_alu instid0(VALU_DEP_1) | instskip(NEXT) | instid1(VALU_DEP_1)
	v_fmac_f32_e32 v5, v2, v4
	v_div_fmas_f32 v2, v5, v3, v4
	s_delay_alu instid0(VALU_DEP_1) | instskip(NEXT) | instid1(VALU_DEP_1)
	v_div_fixup_f32 v2, v2, |s40|, |s39|
	v_readfirstlane_b32 s42, v2
	s_fmaak_f32 s42, s42, s42, 0x3f800000
	s_delay_alu instid0(SALU_CYCLE_3) | instskip(SKIP_1) | instid1(SALU_CYCLE_2)
	s_mul_f32 s43, s42, 0x4f800000
	s_cmp_lt_f32 s42, 0xf800000
	s_cselect_b32 s43, s43, s42
	s_delay_alu instid0(SALU_CYCLE_1) | instskip(SKIP_1) | instid1(TRANS32_DEP_1)
	v_s_sqrt_f32 s45, s43
	s_mov_b32 s47, s43
	s_add_co_i32 s46, s45, -1
	s_delay_alu instid0(SALU_CYCLE_1) | instskip(NEXT) | instid1(SALU_CYCLE_1)
	s_xor_b32 s48, s46, 0x80000000
	s_fmac_f32 s47, s48, s45
	s_mov_b32 s48, s43
	s_delay_alu instid0(SALU_CYCLE_2) | instskip(SKIP_2) | instid1(SALU_CYCLE_1)
	s_cmp_le_f32 s47, 0
	s_cselect_b32 s46, s46, s45
	s_add_co_i32 s47, s45, 1
	s_xor_b32 s49, s47, 0x80000000
	s_delay_alu instid0(SALU_CYCLE_1) | instskip(NEXT) | instid1(SALU_CYCLE_3)
	s_fmac_f32 s48, s49, s45
	s_cmp_gt_f32 s48, 0
	s_cselect_b32 s45, s47, s46
	s_cmp_lt_f32 s42, 0xf800000
	s_mul_f32 s42, s45, 0x37800000
	v_cmp_class_f32_e64 s46, s43, 0x260
	s_delay_alu instid0(SALU_CYCLE_2) | instskip(SKIP_2) | instid1(SALU_CYCLE_1)
	s_cselect_b32 s42, s42, s45
	s_and_b32 s45, s46, exec_lo
	s_cselect_b32 s42, s43, s42
	s_mul_f32 s42, s41, s42
	s_delay_alu instid0(SALU_CYCLE_3)
	v_mov_b32_e32 v4, s42
.LBB3_147:                              ;   in Loop: Header=BB3_114 Depth=2
	s_cbranch_execnz .LBB3_149
.LBB3_148:                              ;   in Loop: Header=BB3_114 Depth=2
	s_wait_xcnt 0x0
	v_div_scale_f32 v2, null, s38, s38, s41
	v_div_scale_f32 v5, vcc_lo, s41, s38, s41
	s_delay_alu instid0(VALU_DEP_2)
	v_rcp_f32_e32 v3, v2
	v_nop
	v_xor_b32_e32 v2, 0x80000000, v2
	s_delay_alu instid0(TRANS32_DEP_1) | instid1(VALU_DEP_1)
	v_fma_f32 v4, v2, v3, 1.0
	s_delay_alu instid0(VALU_DEP_1) | instskip(NEXT) | instid1(VALU_DEP_1)
	v_fmac_f32_e32 v3, v4, v3
	v_mul_f32_e32 v4, v5, v3
	s_delay_alu instid0(VALU_DEP_1) | instskip(NEXT) | instid1(VALU_DEP_1)
	v_fma_f32 v6, v2, v4, v5
	v_fmac_f32_e32 v4, v6, v3
	s_delay_alu instid0(VALU_DEP_1) | instskip(NEXT) | instid1(VALU_DEP_1)
	v_fmac_f32_e32 v5, v2, v4
	v_div_fmas_f32 v2, v5, v3, v4
	s_delay_alu instid0(VALU_DEP_1) | instskip(NEXT) | instid1(VALU_DEP_1)
	v_div_fixup_f32 v2, v2, |s39|, |s40|
	v_readfirstlane_b32 s39, v2
	s_fmaak_f32 s39, s39, s39, 0x3f800000
	s_delay_alu instid0(SALU_CYCLE_3) | instskip(SKIP_1) | instid1(SALU_CYCLE_2)
	s_mul_f32 s40, s39, 0x4f800000
	s_cmp_lt_f32 s39, 0xf800000
	s_cselect_b32 s40, s40, s39
	s_delay_alu instid0(SALU_CYCLE_1) | instskip(SKIP_1) | instid1(TRANS32_DEP_1)
	v_s_sqrt_f32 s41, s40
	s_mov_b32 s43, s40
	s_add_co_i32 s42, s41, -1
	s_delay_alu instid0(SALU_CYCLE_1) | instskip(NEXT) | instid1(SALU_CYCLE_1)
	s_xor_b32 s45, s42, 0x80000000
	s_fmac_f32 s43, s45, s41
	s_mov_b32 s45, s40
	s_delay_alu instid0(SALU_CYCLE_2) | instskip(SKIP_2) | instid1(SALU_CYCLE_1)
	s_cmp_le_f32 s43, 0
	s_cselect_b32 s42, s42, s41
	s_add_co_i32 s43, s41, 1
	s_xor_b32 s46, s43, 0x80000000
	s_delay_alu instid0(SALU_CYCLE_1) | instskip(NEXT) | instid1(SALU_CYCLE_3)
	s_fmac_f32 s45, s46, s41
	s_cmp_gt_f32 s45, 0
	s_cselect_b32 s41, s43, s42
	s_cmp_lt_f32 s39, 0xf800000
	s_mul_f32 s39, s41, 0x37800000
	v_cmp_class_f32_e64 s42, s40, 0x260
	s_delay_alu instid0(SALU_CYCLE_2) | instskip(SKIP_2) | instid1(SALU_CYCLE_1)
	s_cselect_b32 s39, s39, s41
	s_and_b32 s41, s42, exec_lo
	s_cselect_b32 s39, s40, s39
	s_mul_f32 s38, s38, s39
	s_delay_alu instid0(SALU_CYCLE_3)
	v_mov_b32_e32 v4, s38
.LBB3_149:                              ;   in Loop: Header=BB3_114 Depth=2
	s_and_b32 s38, s44, 0x7fffffff
	s_and_b32 s39, s3, 0x7fffffff
	s_delay_alu instid0(SALU_CYCLE_1) | instskip(SKIP_3) | instid1(SALU_CYCLE_1)
	s_cmp_gt_f32 s38, s39
	s_add_f32 s39, s44, s3
	s_cselect_b32 s38, s3, s44
	s_cselect_b32 s40, s44, s3
	s_cmp_nlt_f32 s39, 0
	s_cbranch_scc0 .LBB3_152
; %bb.150:                              ;   in Loop: Header=BB3_114 Depth=2
	s_cmp_ngt_f32 s39, 0
	s_cbranch_scc0 .LBB3_153
; %bb.151:                              ;   in Loop: Header=BB3_114 Depth=2
	s_wait_xcnt 0x0
	s_delay_alu instid0(VALU_DEP_1)
	v_pk_mul_f32 v[2:3], v[4:5], v[0:1] op_sel_hi:[0,1]
	s_cbranch_execz .LBB3_154
	s_branch .LBB3_155
.LBB3_152:                              ;   in Loop: Header=BB3_114 Depth=2
                                        ; implicit-def: $vgpr3
	s_branch .LBB3_156
.LBB3_153:                              ;   in Loop: Header=BB3_114 Depth=2
                                        ; implicit-def: $vgpr3
.LBB3_154:                              ;   in Loop: Header=BB3_114 Depth=2
	s_wait_xcnt 0x0
	s_delay_alu instid0(VALU_DEP_1) | instskip(SKIP_2) | instid1(VALU_DEP_3)
	v_add_f32_e32 v2, s39, v4
	v_cvt_f64_f32_e32 v[6:7], s40
	v_cvt_f64_f32_e32 v[12:13], s5
	v_mul_f32_e32 v2, 0.5, v2
	s_delay_alu instid0(VALU_DEP_1) | instskip(NEXT) | instid1(VALU_DEP_1)
	v_cvt_f64_f32_e32 v[8:9], v2
	v_div_scale_f64 v[14:15], null, v[8:9], v[8:9], v[6:7]
	s_delay_alu instid0(VALU_DEP_4) | instskip(SKIP_1) | instid1(VALU_DEP_3)
	v_div_scale_f64 v[16:17], null, v[8:9], v[8:9], v[12:13]
	v_div_scale_f64 v[26:27], vcc_lo, v[6:7], v[8:9], v[6:7]
	v_rcp_f64_e32 v[18:19], v[14:15]
	s_delay_alu instid0(VALU_DEP_2) | instskip(NEXT) | instid1(TRANS32_DEP_2)
	v_rcp_f64_e32 v[20:21], v[16:17]
	v_fma_f64 v[22:23], -v[14:15], v[18:19], 1.0
	s_delay_alu instid0(TRANS32_DEP_1) | instskip(NEXT) | instid1(VALU_DEP_2)
	v_fma_f64 v[24:25], -v[16:17], v[20:21], 1.0
	v_fmac_f64_e32 v[18:19], v[18:19], v[22:23]
	s_delay_alu instid0(VALU_DEP_2) | instskip(NEXT) | instid1(VALU_DEP_2)
	v_fmac_f64_e32 v[20:21], v[20:21], v[24:25]
	v_fma_f64 v[22:23], -v[14:15], v[18:19], 1.0
	s_delay_alu instid0(VALU_DEP_2) | instskip(NEXT) | instid1(VALU_DEP_2)
	v_fma_f64 v[24:25], -v[16:17], v[20:21], 1.0
	v_fmac_f64_e32 v[18:19], v[18:19], v[22:23]
	v_div_scale_f64 v[22:23], s3, v[12:13], v[8:9], v[12:13]
	s_delay_alu instid0(VALU_DEP_3) | instskip(NEXT) | instid1(VALU_DEP_3)
	v_fmac_f64_e32 v[20:21], v[20:21], v[24:25]
	v_mul_f64_e32 v[24:25], v[26:27], v[18:19]
	s_delay_alu instid0(VALU_DEP_2) | instskip(NEXT) | instid1(VALU_DEP_2)
	v_mul_f64_e32 v[28:29], v[22:23], v[20:21]
	v_fma_f64 v[14:15], -v[14:15], v[24:25], v[26:27]
	s_delay_alu instid0(VALU_DEP_2) | instskip(NEXT) | instid1(VALU_DEP_2)
	v_fma_f64 v[16:17], -v[16:17], v[28:29], v[22:23]
	v_div_fmas_f64 v[14:15], v[14:15], v[18:19], v[24:25]
	s_mov_b32 vcc_lo, s3
	s_delay_alu instid0(VALU_DEP_2) | instskip(NEXT) | instid1(VALU_DEP_2)
	v_div_fmas_f64 v[16:17], v[16:17], v[20:21], v[28:29]
	v_div_fixup_f64 v[6:7], v[14:15], v[8:9], v[6:7]
	s_delay_alu instid0(VALU_DEP_2) | instskip(SKIP_1) | instid1(VALU_DEP_2)
	v_div_fixup_f64 v[16:17], v[16:17], v[8:9], v[12:13]
	v_cvt_f64_f32_e32 v[8:9], s38
	v_mul_f64_e32 v[12:13], v[16:17], v[12:13]
	s_delay_alu instid0(VALU_DEP_1) | instskip(NEXT) | instid1(VALU_DEP_1)
	v_fma_f64 v[6:7], v[6:7], v[8:9], -v[12:13]
	v_cvt_f32_f64_e32 v3, v[6:7]
.LBB3_155:                              ;   in Loop: Header=BB3_114 Depth=2
	s_cbranch_execnz .LBB3_157
.LBB3_156:                              ;   in Loop: Header=BB3_114 Depth=2
	s_wait_xcnt 0x0
	s_delay_alu instid0(VALU_DEP_1) | instskip(SKIP_2) | instid1(VALU_DEP_3)
	v_sub_f32_e32 v2, s39, v4
	v_cvt_f64_f32_e32 v[4:5], s40
	v_cvt_f64_f32_e32 v[8:9], s5
	v_mul_f32_e32 v2, 0.5, v2
	s_delay_alu instid0(VALU_DEP_1) | instskip(NEXT) | instid1(VALU_DEP_1)
	v_cvt_f64_f32_e32 v[6:7], v2
	v_div_scale_f64 v[12:13], null, v[6:7], v[6:7], v[4:5]
	s_delay_alu instid0(VALU_DEP_4) | instskip(SKIP_1) | instid1(VALU_DEP_3)
	v_div_scale_f64 v[14:15], null, v[6:7], v[6:7], v[8:9]
	v_div_scale_f64 v[24:25], vcc_lo, v[4:5], v[6:7], v[4:5]
	v_rcp_f64_e32 v[16:17], v[12:13]
	s_delay_alu instid0(VALU_DEP_2) | instskip(NEXT) | instid1(TRANS32_DEP_2)
	v_rcp_f64_e32 v[18:19], v[14:15]
	v_fma_f64 v[20:21], -v[12:13], v[16:17], 1.0
	s_delay_alu instid0(TRANS32_DEP_1) | instskip(NEXT) | instid1(VALU_DEP_2)
	v_fma_f64 v[22:23], -v[14:15], v[18:19], 1.0
	v_fmac_f64_e32 v[16:17], v[16:17], v[20:21]
	s_delay_alu instid0(VALU_DEP_2) | instskip(NEXT) | instid1(VALU_DEP_2)
	v_fmac_f64_e32 v[18:19], v[18:19], v[22:23]
	v_fma_f64 v[20:21], -v[12:13], v[16:17], 1.0
	s_delay_alu instid0(VALU_DEP_2) | instskip(NEXT) | instid1(VALU_DEP_2)
	v_fma_f64 v[22:23], -v[14:15], v[18:19], 1.0
	v_fmac_f64_e32 v[16:17], v[16:17], v[20:21]
	v_div_scale_f64 v[20:21], s3, v[8:9], v[6:7], v[8:9]
	s_delay_alu instid0(VALU_DEP_3) | instskip(NEXT) | instid1(VALU_DEP_3)
	v_fmac_f64_e32 v[18:19], v[18:19], v[22:23]
	v_mul_f64_e32 v[22:23], v[24:25], v[16:17]
	s_delay_alu instid0(VALU_DEP_2) | instskip(NEXT) | instid1(VALU_DEP_2)
	v_mul_f64_e32 v[26:27], v[20:21], v[18:19]
	v_fma_f64 v[12:13], -v[12:13], v[22:23], v[24:25]
	s_delay_alu instid0(VALU_DEP_2) | instskip(NEXT) | instid1(VALU_DEP_2)
	v_fma_f64 v[14:15], -v[14:15], v[26:27], v[20:21]
	v_div_fmas_f64 v[12:13], v[12:13], v[16:17], v[22:23]
	s_mov_b32 vcc_lo, s3
	s_delay_alu instid0(VALU_DEP_2) | instskip(NEXT) | instid1(VALU_DEP_2)
	v_div_fmas_f64 v[14:15], v[14:15], v[18:19], v[26:27]
	v_div_fixup_f64 v[4:5], v[12:13], v[6:7], v[4:5]
	s_delay_alu instid0(VALU_DEP_2) | instskip(SKIP_1) | instid1(VALU_DEP_2)
	v_div_fixup_f64 v[14:15], v[14:15], v[6:7], v[8:9]
	v_cvt_f64_f32_e32 v[6:7], s38
	v_mul_f64_e32 v[8:9], v[14:15], v[8:9]
	s_delay_alu instid0(VALU_DEP_1) | instskip(NEXT) | instid1(VALU_DEP_1)
	v_fma_f64 v[4:5], v[4:5], v[6:7], -v[8:9]
	v_cvt_f32_f64_e32 v3, v[4:5]
.LBB3_157:                              ;   in Loop: Header=BB3_114 Depth=2
	s_ashr_i32 s5, s4, 31
	global_store_b32 v10, v2, s[36:37]
	s_lshl_b64 s[4:5], s[4:5], 2
	s_add_co_i32 s34, s34, -2
	s_wait_xcnt 0x0
	s_add_nc_u64 s[36:37], s[6:7], s[4:5]
	s_add_nc_u64 s[4:5], s[10:11], s[4:5]
	global_store_b32 v10, v3, s[36:37]
	global_store_b32 v10, v10, s[4:5]
	s_cbranch_execz .LBB3_113
	s_branch .LBB3_112
.LBB3_158:
	s_cmp_lt_i32 s33, 2
	s_cbranch_scc1 .LBB3_169
; %bb.159:
	s_load_b64 s[0:1], s[0:1], 0x28
	v_mov_b32_e32 v0, 0
	s_lshl_b64 s[2:3], s[16:17], 2
	s_wait_kmcnt 0x0
	s_add_nc_u64 s[0:1], s[0:1], s[2:3]
	s_mov_b32 s2, 1
	s_branch .LBB3_161
.LBB3_160:                              ;   in Loop: Header=BB3_161 Depth=1
	s_add_co_i32 s2, s2, 1
	s_wait_xcnt 0x0
	s_add_nc_u64 s[10:11], s[10:11], 4
	s_cmp_lg_u32 s33, s2
	s_cbranch_scc0 .LBB3_163
.LBB3_161:                              ; =>This Inner Loop Header: Depth=1
	global_load_b32 v1, v0, s[10:11]
	s_wait_loadcnt 0x0
	v_cmp_eq_f32_e32 vcc_lo, 0, v1
	s_cbranch_vccnz .LBB3_160
; %bb.162:                              ;   in Loop: Header=BB3_161 Depth=1
	global_load_b32 v1, v0, s[0:1]
	s_wait_loadcnt 0x0
	v_add_nc_u32_e32 v1, 1, v1
	global_store_b32 v0, v1, s[0:1]
	s_branch .LBB3_160
.LBB3_163:
	v_mov_b32_e32 v0, 0
	s_add_nc_u64 s[0:1], s[6:7], 4
	s_mov_b32 s2, 1
	s_branch .LBB3_165
.LBB3_164:                              ;   in Loop: Header=BB3_165 Depth=1
	s_add_co_i32 s2, s2, 1
	s_add_nc_u64 s[0:1], s[0:1], 4
	s_cmp_lg_u32 s2, s33
	s_cbranch_scc0 .LBB3_169
.LBB3_165:                              ; =>This Loop Header: Depth=1
                                        ;     Child Loop BB3_166 Depth 2
	s_add_co_i32 s10, s2, -1
	s_wait_xcnt 0x1
	v_dual_mov_b32 v1, s2 :: v_dual_mov_b32 v2, s10
	s_ashr_i32 s3, s2, 31
	s_mov_b64 s[8:9], s[0:1]
	s_wait_xcnt 0x0
	s_lshl_b64 s[4:5], s[2:3], 2
	global_load_b32 v1, v1, s[6:7] offset:-4 scale_offset
	s_add_nc_u64 s[4:5], s[6:7], s[4:5]
	s_mov_b32 s3, s2
	s_wait_loadcnt 0x0
	v_mov_b32_e32 v3, v1
.LBB3_166:                              ;   Parent Loop BB3_165 Depth=1
                                        ; =>  This Inner Loop Header: Depth=2
	global_load_b32 v4, v0, s[8:9]
	s_wait_xcnt 0x0
	s_add_nc_u64 s[8:9], s[8:9], 4
	s_wait_loadcnt 0x0
	v_cmp_lt_f32_e32 vcc_lo, v4, v3
	v_cndmask_b32_e32 v3, v3, v4, vcc_lo
	v_cndmask_b32_e64 v2, v2, s3, vcc_lo
	s_add_co_i32 s3, s3, 1
	s_delay_alu instid0(SALU_CYCLE_1)
	s_cmp_eq_u32 s33, s3
	s_cbranch_scc0 .LBB3_166
; %bb.167:                              ;   in Loop: Header=BB3_165 Depth=1
	s_delay_alu instid0(VALU_DEP_1)
	v_cmp_ne_u32_e32 vcc_lo, s10, v2
	s_cbranch_vccz .LBB3_164
; %bb.168:                              ;   in Loop: Header=BB3_165 Depth=1
	s_clause 0x1
	global_store_b32 v2, v1, s[6:7] scale_offset
	global_store_b32 v0, v3, s[4:5] offset:-4
	s_branch .LBB3_164
.LBB3_169:
	s_endpgm
	.section	.rodata,"a",@progbits
	.p2align	6, 0x0
	.amdhsa_kernel _ZN9rocsolver6v33100L12sterf_kernelIfEEviPT_lS3_lPiS4_iS2_S2_S2_
		.amdhsa_group_segment_fixed_size 0
		.amdhsa_private_segment_fixed_size 0
		.amdhsa_kernarg_size 72
		.amdhsa_user_sgpr_count 2
		.amdhsa_user_sgpr_dispatch_ptr 0
		.amdhsa_user_sgpr_queue_ptr 0
		.amdhsa_user_sgpr_kernarg_segment_ptr 1
		.amdhsa_user_sgpr_dispatch_id 0
		.amdhsa_user_sgpr_kernarg_preload_length 0
		.amdhsa_user_sgpr_kernarg_preload_offset 0
		.amdhsa_user_sgpr_private_segment_size 0
		.amdhsa_wavefront_size32 1
		.amdhsa_uses_dynamic_stack 0
		.amdhsa_enable_private_segment 0
		.amdhsa_system_sgpr_workgroup_id_x 1
		.amdhsa_system_sgpr_workgroup_id_y 0
		.amdhsa_system_sgpr_workgroup_id_z 0
		.amdhsa_system_sgpr_workgroup_info 0
		.amdhsa_system_vgpr_workitem_id 0
		.amdhsa_next_free_vgpr 30
		.amdhsa_next_free_sgpr 60
		.amdhsa_named_barrier_count 0
		.amdhsa_reserve_vcc 1
		.amdhsa_float_round_mode_32 0
		.amdhsa_float_round_mode_16_64 0
		.amdhsa_float_denorm_mode_32 3
		.amdhsa_float_denorm_mode_16_64 3
		.amdhsa_fp16_overflow 0
		.amdhsa_memory_ordered 1
		.amdhsa_forward_progress 1
		.amdhsa_inst_pref_size 81
		.amdhsa_round_robin_scheduling 0
		.amdhsa_exception_fp_ieee_invalid_op 0
		.amdhsa_exception_fp_denorm_src 0
		.amdhsa_exception_fp_ieee_div_zero 0
		.amdhsa_exception_fp_ieee_overflow 0
		.amdhsa_exception_fp_ieee_underflow 0
		.amdhsa_exception_fp_ieee_inexact 0
		.amdhsa_exception_int_div_zero 0
	.end_amdhsa_kernel
	.section	.text._ZN9rocsolver6v33100L12sterf_kernelIfEEviPT_lS3_lPiS4_iS2_S2_S2_,"axG",@progbits,_ZN9rocsolver6v33100L12sterf_kernelIfEEviPT_lS3_lPiS4_iS2_S2_S2_,comdat
.Lfunc_end3:
	.size	_ZN9rocsolver6v33100L12sterf_kernelIfEEviPT_lS3_lPiS4_iS2_S2_S2_, .Lfunc_end3-_ZN9rocsolver6v33100L12sterf_kernelIfEEviPT_lS3_lPiS4_iS2_S2_S2_
                                        ; -- End function
	.set _ZN9rocsolver6v33100L12sterf_kernelIfEEviPT_lS3_lPiS4_iS2_S2_S2_.num_vgpr, 30
	.set _ZN9rocsolver6v33100L12sterf_kernelIfEEviPT_lS3_lPiS4_iS2_S2_S2_.num_agpr, 0
	.set _ZN9rocsolver6v33100L12sterf_kernelIfEEviPT_lS3_lPiS4_iS2_S2_S2_.numbered_sgpr, 60
	.set _ZN9rocsolver6v33100L12sterf_kernelIfEEviPT_lS3_lPiS4_iS2_S2_S2_.num_named_barrier, 0
	.set _ZN9rocsolver6v33100L12sterf_kernelIfEEviPT_lS3_lPiS4_iS2_S2_S2_.private_seg_size, 0
	.set _ZN9rocsolver6v33100L12sterf_kernelIfEEviPT_lS3_lPiS4_iS2_S2_S2_.uses_vcc, 1
	.set _ZN9rocsolver6v33100L12sterf_kernelIfEEviPT_lS3_lPiS4_iS2_S2_S2_.uses_flat_scratch, 0
	.set _ZN9rocsolver6v33100L12sterf_kernelIfEEviPT_lS3_lPiS4_iS2_S2_S2_.has_dyn_sized_stack, 0
	.set _ZN9rocsolver6v33100L12sterf_kernelIfEEviPT_lS3_lPiS4_iS2_S2_S2_.has_recursion, 0
	.set _ZN9rocsolver6v33100L12sterf_kernelIfEEviPT_lS3_lPiS4_iS2_S2_S2_.has_indirect_call, 0
	.section	.AMDGPU.csdata,"",@progbits
; Kernel info:
; codeLenInByte = 10352
; TotalNumSgprs: 62
; NumVgprs: 30
; ScratchSize: 0
; MemoryBound: 0
; FloatMode: 240
; IeeeMode: 1
; LDSByteSize: 0 bytes/workgroup (compile time only)
; SGPRBlocks: 0
; VGPRBlocks: 1
; NumSGPRsForWavesPerEU: 62
; NumVGPRsForWavesPerEU: 30
; NamedBarCnt: 0
; Occupancy: 16
; WaveLimiterHint : 0
; COMPUTE_PGM_RSRC2:SCRATCH_EN: 0
; COMPUTE_PGM_RSRC2:USER_SGPR: 2
; COMPUTE_PGM_RSRC2:TRAP_HANDLER: 0
; COMPUTE_PGM_RSRC2:TGID_X_EN: 1
; COMPUTE_PGM_RSRC2:TGID_Y_EN: 0
; COMPUTE_PGM_RSRC2:TGID_Z_EN: 0
; COMPUTE_PGM_RSRC2:TIDIG_COMP_CNT: 0
	.section	.text._ZN9rocsolver6v33100L11lasr_kernelIffPfiEEv13rocblas_side_14rocblas_pivot_15rocblas_direct_T2_S6_PT0_lS8_lT1_lS6_lS6_,"axG",@progbits,_ZN9rocsolver6v33100L11lasr_kernelIffPfiEEv13rocblas_side_14rocblas_pivot_15rocblas_direct_T2_S6_PT0_lS8_lT1_lS6_lS6_,comdat
	.globl	_ZN9rocsolver6v33100L11lasr_kernelIffPfiEEv13rocblas_side_14rocblas_pivot_15rocblas_direct_T2_S6_PT0_lS8_lT1_lS6_lS6_ ; -- Begin function _ZN9rocsolver6v33100L11lasr_kernelIffPfiEEv13rocblas_side_14rocblas_pivot_15rocblas_direct_T2_S6_PT0_lS8_lT1_lS6_lS6_
	.p2align	8
	.type	_ZN9rocsolver6v33100L11lasr_kernelIffPfiEEv13rocblas_side_14rocblas_pivot_15rocblas_direct_T2_S6_PT0_lS8_lT1_lS6_lS6_,@function
_ZN9rocsolver6v33100L11lasr_kernelIffPfiEEv13rocblas_side_14rocblas_pivot_15rocblas_direct_T2_S6_PT0_lS8_lT1_lS6_lS6_: ; @_ZN9rocsolver6v33100L11lasr_kernelIffPfiEEv13rocblas_side_14rocblas_pivot_15rocblas_direct_T2_S6_PT0_lS8_lT1_lS6_lS6_
; %bb.0:
	s_load_b32 s33, s[0:1], 0x58
	s_bfe_u32 s2, ttmp6, 0x40014
	s_lshr_b32 s3, ttmp7, 16
	s_add_co_i32 s2, s2, 1
	s_bfe_u32 s5, ttmp6, 0x40008
	s_mul_i32 s2, s3, s2
	s_getreg_b32 s4, hwreg(HW_REG_IB_STS2, 6, 4)
	s_add_co_i32 s5, s5, s2
	s_cmp_eq_u32 s4, 0
	s_cselect_b32 s2, s3, s5
	s_mov_b32 s3, 0
	s_wait_kmcnt 0x0
	s_cmp_ge_u32 s2, s33
	s_cbranch_scc1 .LBB4_108
; %bb.1:
	s_clause 0x3
	s_load_b32 s20, s[0:1], 0x48
	s_load_b64 s[22:23], s[0:1], 0x68
	s_load_b128 s[16:19], s[0:1], 0x38
	s_load_b128 s[12:15], s[0:1], 0x0
	s_bfe_u32 s5, ttmp6, 0x4000c
	s_and_b32 s6, ttmp6, 15
	s_add_co_i32 s5, s5, 1
	s_load_b32 s24, s[0:1], 0x60
	s_mul_i32 s5, ttmp9, s5
	s_mov_b32 s37, s3
	s_add_co_i32 s6, s6, s5
	s_mov_b32 s49, s3
	s_wait_kmcnt 0x0
	s_ashr_i32 s21, s20, 31
	s_and_b32 s25, s23, 0xffff
	s_cmp_eq_u32 s4, 0
	s_load_b32 s23, s[0:1], 0x10
	s_cselect_b32 s26, ttmp9, s6
	s_lshl_b64 s[46:47], s[18:19], 2
	v_mad_u32 v0, s26, s25, v0
	s_cmp_eq_u32 s12, 0x8d
	s_load_b64 s[18:19], s[0:1], 0x50
	s_cselect_b32 s27, -1, 0
	s_cmp_eq_u32 s12, 0x8e
	s_load_b256 s[4:11], s[0:1], 0x18
	s_cselect_b32 s28, -1, 0
	s_cmp_eq_u32 s13, 0x119
	s_mul_i32 s12, s24, s25
	s_cselect_b32 s29, -1, 0
	s_cmp_eq_u32 s13, 0x11b
	v_ashrrev_i32_e32 v1, 31, v0
	s_wait_xcnt 0x0
	s_cselect_b32 s0, -1, 0
	s_cmp_eq_u32 s13, 0x11a
	s_add_nc_u64 s[24:25], s[16:17], s[46:47]
	s_cselect_b32 s1, -1, 0
	v_mul_u64_e32 v[8:9], s[20:21], v[0:1]
	s_cmp_eq_u32 s14, 0xab
	v_lshlrev_b64_e32 v[10:11], 2, v[0:1]
	s_cselect_b32 s13, -1, 0
	s_cmp_eq_u32 s14, 0xac
	v_mov_b32_e32 v1, 0
	s_cselect_b32 s30, -1, 0
	s_and_b32 s26, s27, s1
	s_and_b32 s14, s27, s29
	;; [unrolled: 1-line block ×6, first 2 shown]
	s_xor_b32 s78, s26, -1
	s_and_b32 s26, s28, s29
	s_and_b32 s1, s28, s1
	;; [unrolled: 1-line block ×3, first 2 shown]
	v_cmp_gt_i32_e64 s0, s15, v0
	s_and_b32 s34, s14, s30
	s_xor_b32 s14, s31, -1
	s_and_b32 s31, s27, s13
	s_and_b32 s27, s27, s30
	;; [unrolled: 1-line block ×3, first 2 shown]
	s_xor_b32 s80, s27, -1
	s_and_b32 s26, s26, s30
	s_and_b32 s27, s1, s13
	;; [unrolled: 1-line block ×3, first 2 shown]
	s_xor_b32 s82, s26, -1
	s_and_b32 s13, s28, s13
	s_xor_b32 s84, s1, -1
	s_wait_kmcnt 0x0
	s_add_co_i32 s26, s23, -1
	s_and_b32 s1, s30, s0
	s_xor_b32 s76, s34, -1
	s_xor_b32 s77, s35, -1
	;; [unrolled: 1-line block ×6, first 2 shown]
	s_ashr_i32 s27, s26, 31
	s_and_b32 s86, s28, s1
	s_add_co_i32 s36, s23, -2
	s_cmp_gt_i32 s23, 1
	s_mul_u64 s[28:29], s[20:21], s[26:27]
	s_mov_b32 s27, s3
	s_cselect_b32 s87, -1, 0
	s_ashr_i32 s31, s15, 31
	s_add_co_i32 s48, s15, -2
	s_cmp_gt_i32 s15, 1
	s_mul_u64 s[50:51], s[20:21], s[26:27]
	s_cselect_b32 s88, -1, 0
	s_lshl_b64 s[50:51], s[50:51], 2
	s_lshl_b64 s[42:43], s[20:21], 2
	s_add_nc_u64 s[50:51], s[50:51], s[46:47]
	s_lshl_b64 s[38:39], s[36:37], 2
	s_mul_u64 s[36:37], s[20:21], s[36:37]
	s_add_nc_u64 s[50:51], s[16:17], s[50:51]
	s_add_nc_u64 s[52:53], s[46:47], s[42:43]
	s_lshl_b64 s[36:37], s[36:37], 2
	v_add_nc_u64_e32 v[6:7], s[50:51], v[10:11]
	s_add_nc_u64 s[50:51], s[16:17], s[52:53]
	v_lshl_add_u64 v[14:15], v[8:9], 2, s[46:47]
	s_add_nc_u64 s[40:41], s[36:37], s[46:47]
	v_add_nc_u64_e32 v[8:9], s[50:51], v[10:11]
	s_lshl_b64 s[50:51], s[48:49], 2
	s_add_nc_u64 s[34:35], s[4:5], s[38:39]
	s_add_nc_u64 s[36:37], s[8:9], s[38:39]
	;; [unrolled: 1-line block ×4, first 2 shown]
	v_add_nc_u64_e32 v[2:3], s[38:39], v[10:11]
	v_add_nc_u64_e32 v[4:5], s[24:25], v[10:11]
	;; [unrolled: 1-line block ×4, first 2 shown]
	s_add_co_i32 s46, s15, -1
	s_mov_b32 s47, s3
	s_ashr_i32 s13, s12, 31
	s_lshl_b64 s[52:53], s[46:47], 2
	v_cmp_gt_i32_e64 s1, s23, v0
	s_add_nc_u64 s[16:17], s[16:17], s[52:53]
	v_add_nc_u64_e32 v[16:17], 4, v[10:11]
	v_add_nc_u64_e32 v[14:15], s[16:17], v[14:15]
	;; [unrolled: 1-line block ×3, first 2 shown]
	s_mul_u64 s[52:53], s[20:21], s[12:13]
	s_mov_b32 s30, s15
	s_lshl_b64 s[6:7], s[6:7], 2
	s_lshl_b64 s[10:11], s[10:11], 2
	;; [unrolled: 1-line block ×4, first 2 shown]
	s_sub_nc_u64 s[44:45], 0, s[42:43]
	s_add_co_i32 s27, s23, 1
	s_add_nc_u64 s[48:49], s[4:5], s[50:51]
	s_add_nc_u64 s[16:17], s[8:9], s[50:51]
	s_lshl_b64 s[50:51], s[52:53], 2
	s_add_co_i32 s13, s15, 1
	s_branch .LBB4_4
.LBB4_2:                                ;   in Loop: Header=BB4_4 Depth=1
	s_or_b32 exec_lo, exec_lo, s47
.LBB4_3:                                ;   in Loop: Header=BB4_4 Depth=1
	s_add_co_i32 s2, s2, s22
	s_delay_alu instid0(SALU_CYCLE_1)
	s_cmp_ge_u32 s2, s33
	s_cbranch_scc1 .LBB4_108
.LBB4_4:                                ; =>This Loop Header: Depth=1
                                        ;     Child Loop BB4_19 Depth 2
                                        ;       Child Loop BB4_20 Depth 3
                                        ;     Child Loop BB4_26 Depth 2
                                        ;       Child Loop BB4_27 Depth 3
	;; [unrolled: 2-line block ×12, first 2 shown]
	s_mul_u64 s[62:63], s[38:39], s[2:3]
	s_mul_u64 s[54:55], s[18:19], s[2:3]
	v_add_nc_u64_e32 v[20:21], s[62:63], v[16:17]
	s_mul_u64 s[64:65], s[6:7], s[2:3]
	s_mul_u64 s[66:67], s[10:11], s[2:3]
	s_lshl_b64 s[56:57], s[54:55], 2
	s_add_nc_u64 s[52:53], s[4:5], s[64:65]
	s_add_nc_u64 s[54:55], s[8:9], s[66:67]
	;; [unrolled: 1-line block ×3, first 2 shown]
	s_and_b32 vcc_lo, exec_lo, s14
	s_mov_b32 s47, -1
	s_cbranch_vccnz .LBB4_6
; %bb.5:                                ;   in Loop: Header=BB4_4 Depth=1
	s_and_not1_b32 vcc_lo, exec_lo, s47
	s_cbranch_vccnz .LBB4_3
	s_branch .LBB4_103
.LBB4_6:                                ;   in Loop: Header=BB4_4 Depth=1
	s_add_nc_u64 s[58:59], s[48:49], s[64:65]
	s_add_nc_u64 s[60:61], s[16:17], s[66:67]
	s_and_b32 vcc_lo, exec_lo, s76
	s_cbranch_vccz .LBB4_95
; %bb.7:                                ;   in Loop: Header=BB4_4 Depth=1
	s_and_b32 vcc_lo, exec_lo, s77
	s_cbranch_vccz .LBB4_87
; %bb.8:                                ;   in Loop: Header=BB4_4 Depth=1
	;; [unrolled: 3-line block ×3, first 2 shown]
	s_and_b32 vcc_lo, exec_lo, s79
	s_cbranch_vccz .LBB4_71
; %bb.10:                               ;   in Loop: Header=BB4_4 Depth=1
	s_and_b32 vcc_lo, exec_lo, s80
	s_cbranch_vccz .LBB4_63
; %bb.11:                               ;   in Loop: Header=BB4_4 Depth=1
	v_add_nc_u64_e32 v[22:23], s[62:63], v[4:5]
	s_and_b32 vcc_lo, exec_lo, s81
	s_cbranch_vccz .LBB4_55
; %bb.12:                               ;   in Loop: Header=BB4_4 Depth=1
	v_add_nc_u64_e32 v[24:25], s[62:63], v[6:7]
	v_add_nc_u64_e32 v[26:27], s[62:63], v[2:3]
	s_add_nc_u64 s[64:65], s[34:35], s[64:65]
	s_add_nc_u64 s[66:67], s[36:37], s[66:67]
	s_and_b32 vcc_lo, exec_lo, s82
	s_cbranch_vccz .LBB4_46
; %bb.13:                               ;   in Loop: Header=BB4_4 Depth=1
	s_and_b32 vcc_lo, exec_lo, s83
	s_cbranch_vccz .LBB4_38
; %bb.14:                               ;   in Loop: Header=BB4_4 Depth=1
	;; [unrolled: 3-line block ×4, first 2 shown]
	s_and_saveexec_b32 s47, s86
	s_cbranch_execz .LBB4_21
; %bb.17:                               ;   in Loop: Header=BB4_4 Depth=1
	v_mov_b64_e32 v[28:29], v[26:27]
	v_mov_b32_e32 v30, v0
	s_lshl_b64 s[68:69], s[28:29], 2
	s_mov_b32 s74, 0
	s_add_nc_u64 s[68:69], s[56:57], s[68:69]
	s_branch .LBB4_19
.LBB4_18:                               ;   in Loop: Header=BB4_19 Depth=2
	v_ashrrev_i32_e32 v31, 31, v30
	v_add_nc_u64_e32 v[28:29], s[40:41], v[28:29]
	s_delay_alu instid0(VALU_DEP_2)
	v_lshl_add_u64 v[34:35], v[30:31], 2, s[68:69]
	s_wait_xcnt 0x0
	v_add_nc_u32_e32 v30, s12, v30
	s_wait_loadcnt 0x0
	global_store_b32 v[34:35], v32, off
	v_cmp_le_i32_e32 vcc_lo, s15, v30
	s_or_b32 s74, vcc_lo, s74
	s_wait_xcnt 0x0
	s_and_not1_b32 exec_lo, exec_lo, s74
	s_cbranch_execz .LBB4_21
.LBB4_19:                               ;   Parent Loop BB4_4 Depth=1
                                        ; =>  This Loop Header: Depth=2
                                        ;       Child Loop BB4_20 Depth 3
	global_load_b32 v32, v30, s[68:69] scale_offset
	v_mov_b64_e32 v[34:35], v[28:29]
	s_and_not1_b32 vcc_lo, exec_lo, s87
	s_mov_b64 s[70:71], s[66:67]
	s_mov_b64 s[72:73], s[64:65]
	s_mov_b32 s75, s26
	s_cbranch_vccnz .LBB4_18
.LBB4_20:                               ;   Parent Loop BB4_4 Depth=1
                                        ;     Parent Loop BB4_19 Depth=2
                                        ; =>    This Inner Loop Header: Depth=3
	s_clause 0x1
	global_load_b32 v33, v1, s[72:73]
	global_load_b32 v36, v1, s[70:71]
	global_load_b32 v37, v[34:35], off
	s_wait_loadcnt 0x3
	v_mov_b32_e32 v38, v32
	s_add_co_i32 s75, s75, -1
	s_wait_xcnt 0x2
	s_add_nc_u64 s[72:73], s[72:73], -4
	s_cmp_eq_u32 s75, 0
	s_wait_xcnt 0x1
	s_add_nc_u64 s[70:71], s[70:71], -4
	s_wait_loadcnt 0x1
	v_mov_b32_e32 v39, v36
	s_wait_loadcnt 0x0
	v_pk_mul_f32 v[40:41], v[32:33], v[36:37]
	s_delay_alu instid0(VALU_DEP_1) | instskip(NEXT) | instid1(VALU_DEP_1)
	v_dual_mov_b32 v36, v33 :: v_dual_add_f32 v31, v40, v41
	v_pk_mul_f32 v[32:33], v[38:39], v[36:37]
	global_store_b32 v[34:35], v31, off
	s_wait_xcnt 0x0
	v_add_nc_u64_e32 v[34:35], s[44:45], v[34:35]
	v_sub_f32_e32 v32, v32, v33
	s_cbranch_scc0 .LBB4_20
	s_branch .LBB4_18
.LBB4_21:                               ;   in Loop: Header=BB4_4 Depth=1
	s_or_b32 exec_lo, exec_lo, s47
	s_mov_b32 s47, 0
.LBB4_22:                               ;   in Loop: Header=BB4_4 Depth=1
	s_delay_alu instid0(SALU_CYCLE_1)
	s_and_not1_b32 vcc_lo, exec_lo, s47
	s_cbranch_vccnz .LBB4_29
; %bb.23:                               ;   in Loop: Header=BB4_4 Depth=1
	s_and_saveexec_b32 s47, s0
	s_cbranch_execz .LBB4_28
; %bb.24:                               ;   in Loop: Header=BB4_4 Depth=1
	v_mov_b64_e32 v[28:29], v[22:23]
	v_mov_b32_e32 v30, v0
	s_lshl_b64 s[68:69], s[28:29], 2
	s_mov_b32 s74, 0
	s_add_nc_u64 s[68:69], s[56:57], s[68:69]
	s_branch .LBB4_26
.LBB4_25:                               ;   in Loop: Header=BB4_26 Depth=2
	v_ashrrev_i32_e32 v31, 31, v30
	v_add_nc_u64_e32 v[28:29], s[40:41], v[28:29]
	s_delay_alu instid0(VALU_DEP_2)
	v_lshl_add_u64 v[34:35], v[30:31], 2, s[68:69]
	s_wait_xcnt 0x0
	v_add_nc_u32_e32 v30, s12, v30
	s_wait_loadcnt 0x0
	global_store_b32 v[34:35], v32, off
	v_cmp_le_i32_e32 vcc_lo, s15, v30
	s_or_b32 s74, vcc_lo, s74
	s_wait_xcnt 0x0
	s_and_not1_b32 exec_lo, exec_lo, s74
	s_cbranch_execz .LBB4_28
.LBB4_26:                               ;   Parent Loop BB4_4 Depth=1
                                        ; =>  This Loop Header: Depth=2
                                        ;       Child Loop BB4_27 Depth 3
	global_load_b32 v32, v30, s[68:69] scale_offset
	v_mov_b64_e32 v[34:35], v[28:29]
	s_and_not1_b32 vcc_lo, exec_lo, s87
	s_mov_b64 s[70:71], s[54:55]
	s_mov_b64 s[72:73], s[52:53]
	s_mov_b32 s75, s26
	s_cbranch_vccnz .LBB4_25
.LBB4_27:                               ;   Parent Loop BB4_4 Depth=1
                                        ;     Parent Loop BB4_26 Depth=2
                                        ; =>    This Inner Loop Header: Depth=3
	s_clause 0x1
	global_load_b32 v33, v1, s[72:73]
	global_load_b32 v36, v1, s[70:71]
	global_load_b32 v37, v[34:35], off
	s_wait_loadcnt 0x3
	v_mov_b32_e32 v38, v32
	s_add_co_i32 s75, s75, -1
	s_wait_xcnt 0x2
	s_add_nc_u64 s[72:73], s[72:73], 4
	s_cmp_eq_u32 s75, 0
	s_wait_xcnt 0x1
	s_add_nc_u64 s[70:71], s[70:71], 4
	s_wait_loadcnt 0x1
	v_mov_b32_e32 v39, v36
	s_wait_loadcnt 0x0
	v_pk_mul_f32 v[40:41], v[32:33], v[36:37]
	s_delay_alu instid0(VALU_DEP_1) | instskip(NEXT) | instid1(VALU_DEP_1)
	v_dual_mov_b32 v36, v33 :: v_dual_add_f32 v31, v40, v41
	v_pk_mul_f32 v[32:33], v[38:39], v[36:37]
	global_store_b32 v[34:35], v31, off
	s_wait_xcnt 0x0
	v_add_nc_u64_e32 v[34:35], s[42:43], v[34:35]
	v_sub_f32_e32 v32, v32, v33
	s_cbranch_scc0 .LBB4_27
	s_branch .LBB4_25
.LBB4_28:                               ;   in Loop: Header=BB4_4 Depth=1
	s_or_b32 exec_lo, exec_lo, s47
.LBB4_29:                               ;   in Loop: Header=BB4_4 Depth=1
	s_mov_b32 s47, 0
.LBB4_30:                               ;   in Loop: Header=BB4_4 Depth=1
	s_delay_alu instid0(SALU_CYCLE_1)
	s_and_not1_b32 vcc_lo, exec_lo, s47
	s_cbranch_vccnz .LBB4_37
; %bb.31:                               ;   in Loop: Header=BB4_4 Depth=1
	s_and_saveexec_b32 s47, s0
	s_cbranch_execz .LBB4_36
; %bb.32:                               ;   in Loop: Header=BB4_4 Depth=1
	v_mov_b64_e32 v[28:29], v[24:25]
	v_mov_b32_e32 v30, v0
	s_mov_b32 s72, 0
	s_branch .LBB4_34
.LBB4_33:                               ;   in Loop: Header=BB4_34 Depth=2
	v_ashrrev_i32_e32 v31, 31, v30
	v_add_nc_u64_e32 v[28:29], s[40:41], v[28:29]
	s_delay_alu instid0(VALU_DEP_2)
	v_lshl_add_u64 v[34:35], v[30:31], 2, s[56:57]
	s_wait_xcnt 0x0
	v_add_nc_u32_e32 v30, s12, v30
	s_wait_loadcnt 0x0
	global_store_b32 v[34:35], v33, off
	v_cmp_le_i32_e32 vcc_lo, s15, v30
	s_or_b32 s72, vcc_lo, s72
	s_wait_xcnt 0x0
	s_and_not1_b32 exec_lo, exec_lo, s72
	s_cbranch_execz .LBB4_36
.LBB4_34:                               ;   Parent Loop BB4_4 Depth=1
                                        ; =>  This Loop Header: Depth=2
                                        ;       Child Loop BB4_35 Depth 3
	global_load_b32 v33, v30, s[56:57] scale_offset
	v_mov_b64_e32 v[34:35], v[28:29]
	s_and_not1_b32 vcc_lo, exec_lo, s87
	s_mov_b64 s[68:69], s[66:67]
	s_mov_b64 s[70:71], s[64:65]
	s_mov_b32 s73, s27
	s_cbranch_vccnz .LBB4_33
.LBB4_35:                               ;   Parent Loop BB4_4 Depth=1
                                        ;     Parent Loop BB4_34 Depth=2
                                        ; =>    This Inner Loop Header: Depth=3
	s_clause 0x1
	global_load_b32 v32, v1, s[70:71]
	global_load_b32 v37, v1, s[68:69]
	global_load_b32 v36, v[34:35], off
	s_wait_loadcnt 0x3
	v_mov_b32_e32 v38, v33
	s_add_co_i32 s73, s73, -1
	s_wait_xcnt 0x2
	s_add_nc_u64 s[70:71], s[70:71], -4
	s_cmp_lt_u32 s73, 3
	s_wait_xcnt 0x1
	s_add_nc_u64 s[68:69], s[68:69], -4
	s_wait_loadcnt 0x1
	v_mov_b32_e32 v39, v37
	s_wait_loadcnt 0x0
	v_pk_mul_f32 v[40:41], v[32:33], v[36:37]
	v_mov_b32_e32 v33, v36
	s_delay_alu instid0(VALU_DEP_2) | instskip(NEXT) | instid1(VALU_DEP_2)
	v_sub_f32_e32 v31, v40, v41
	v_pk_mul_f32 v[32:33], v[38:39], v[32:33]
	global_store_b32 v[34:35], v31, off
	s_wait_xcnt 0x0
	v_add_nc_u64_e32 v[34:35], s[44:45], v[34:35]
	v_add_f32_e32 v33, v32, v33
	s_cbranch_scc0 .LBB4_35
	s_branch .LBB4_33
.LBB4_36:                               ;   in Loop: Header=BB4_4 Depth=1
	s_or_b32 exec_lo, exec_lo, s47
.LBB4_37:                               ;   in Loop: Header=BB4_4 Depth=1
	s_mov_b32 s47, 0
.LBB4_38:                               ;   in Loop: Header=BB4_4 Depth=1
	s_delay_alu instid0(SALU_CYCLE_1)
	s_and_not1_b32 vcc_lo, exec_lo, s47
	s_cbranch_vccnz .LBB4_45
; %bb.39:                               ;   in Loop: Header=BB4_4 Depth=1
	s_and_saveexec_b32 s47, s0
	s_cbranch_execz .LBB4_44
; %bb.40:                               ;   in Loop: Header=BB4_4 Depth=1
	v_add_nc_u64_e32 v[28:29], s[62:63], v[8:9]
	v_mov_b32_e32 v30, v0
	s_mov_b32 s72, 0
	s_branch .LBB4_42
.LBB4_41:                               ;   in Loop: Header=BB4_42 Depth=2
	v_ashrrev_i32_e32 v31, 31, v30
	v_add_nc_u64_e32 v[28:29], s[40:41], v[28:29]
	s_delay_alu instid0(VALU_DEP_2)
	v_lshl_add_u64 v[34:35], v[30:31], 2, s[56:57]
	s_wait_xcnt 0x0
	v_add_nc_u32_e32 v30, s12, v30
	s_wait_loadcnt 0x0
	global_store_b32 v[34:35], v33, off
	v_cmp_le_i32_e32 vcc_lo, s15, v30
	s_or_b32 s72, vcc_lo, s72
	s_wait_xcnt 0x0
	s_and_not1_b32 exec_lo, exec_lo, s72
	s_cbranch_execz .LBB4_44
.LBB4_42:                               ;   Parent Loop BB4_4 Depth=1
                                        ; =>  This Loop Header: Depth=2
                                        ;       Child Loop BB4_43 Depth 3
	global_load_b32 v33, v30, s[56:57] scale_offset
	v_mov_b64_e32 v[34:35], v[28:29]
	s_and_not1_b32 vcc_lo, exec_lo, s87
	s_mov_b32 s73, s26
	s_mov_b64 s[68:69], s[52:53]
	s_mov_b64 s[70:71], s[54:55]
	s_cbranch_vccnz .LBB4_41
.LBB4_43:                               ;   Parent Loop BB4_4 Depth=1
                                        ;     Parent Loop BB4_42 Depth=2
                                        ; =>    This Inner Loop Header: Depth=3
	s_clause 0x1
	global_load_b32 v32, v1, s[68:69]
	global_load_b32 v37, v1, s[70:71]
	global_load_b32 v36, v[34:35], off
	s_wait_loadcnt 0x3
	v_mov_b32_e32 v38, v33
	s_add_co_i32 s73, s73, -1
	s_wait_xcnt 0x1
	s_add_nc_u64 s[70:71], s[70:71], 4
	s_cmp_eq_u32 s73, 0
	s_add_nc_u64 s[68:69], s[68:69], 4
	s_wait_loadcnt 0x1
	v_mov_b32_e32 v39, v37
	s_wait_loadcnt 0x0
	v_pk_mul_f32 v[40:41], v[32:33], v[36:37]
	v_mov_b32_e32 v33, v36
	s_delay_alu instid0(VALU_DEP_2) | instskip(NEXT) | instid1(VALU_DEP_2)
	v_sub_f32_e32 v31, v40, v41
	v_pk_mul_f32 v[32:33], v[38:39], v[32:33]
	global_store_b32 v[34:35], v31, off
	s_wait_xcnt 0x0
	v_add_nc_u64_e32 v[34:35], s[42:43], v[34:35]
	v_add_f32_e32 v33, v32, v33
	s_cbranch_scc0 .LBB4_43
	s_branch .LBB4_41
.LBB4_44:                               ;   in Loop: Header=BB4_4 Depth=1
	s_or_b32 exec_lo, exec_lo, s47
.LBB4_45:                               ;   in Loop: Header=BB4_4 Depth=1
	s_mov_b32 s47, 0
.LBB4_46:                               ;   in Loop: Header=BB4_4 Depth=1
	s_delay_alu instid0(SALU_CYCLE_1)
	s_and_not1_b32 vcc_lo, exec_lo, s47
	s_cbranch_vccnz .LBB4_54
; %bb.47:                               ;   in Loop: Header=BB4_4 Depth=1
	s_and_saveexec_b32 s47, s0
	s_cbranch_execz .LBB4_53
; %bb.48:                               ;   in Loop: Header=BB4_4 Depth=1
	v_mov_b32_e32 v28, v0
	s_lshl_b64 s[68:69], s[28:29], 2
	s_mov_b32 s89, 0
	s_add_nc_u64 s[68:69], s[56:57], s[68:69]
	s_branch .LBB4_50
.LBB4_49:                               ;   in Loop: Header=BB4_50 Depth=2
	s_wait_xcnt 0x0
	v_ashrrev_i32_e32 v29, 31, v28
	v_add_nc_u64_e32 v[24:25], s[40:41], v[24:25]
	v_add_nc_u64_e32 v[26:27], s[40:41], v[26:27]
	s_delay_alu instid0(VALU_DEP_3)
	v_lshl_add_u64 v[32:33], v[28:29], 2, s[56:57]
	v_add_nc_u32_e32 v28, s12, v28
	s_wait_loadcnt 0x0
	global_store_b32 v[32:33], v30, off
	v_cmp_le_i32_e32 vcc_lo, s15, v28
	s_or_b32 s89, vcc_lo, s89
	s_wait_xcnt 0x0
	s_and_not1_b32 exec_lo, exec_lo, s89
	s_cbranch_execz .LBB4_53
.LBB4_50:                               ;   Parent Loop BB4_4 Depth=1
                                        ; =>  This Loop Header: Depth=2
                                        ;       Child Loop BB4_52 Depth 3
	global_load_b32 v30, v28, s[68:69] scale_offset
	s_and_not1_b32 vcc_lo, exec_lo, s87
	s_cbranch_vccnz .LBB4_49
; %bb.51:                               ;   in Loop: Header=BB4_50 Depth=2
	s_mov_b64 s[70:71], 0
	s_mov_b64 s[72:73], s[66:67]
	;; [unrolled: 1-line block ×3, first 2 shown]
	s_mov_b32 s90, s26
.LBB4_52:                               ;   Parent Loop BB4_4 Depth=1
                                        ;     Parent Loop BB4_50 Depth=2
                                        ; =>    This Inner Loop Header: Depth=3
	s_wait_xcnt 0x0
	v_add_nc_u64_e32 v[32:33], s[70:71], v[26:27]
	s_add_co_i32 s90, s90, -1
	s_clause 0x1
	global_load_b32 v34, v1, s[74:75]
	global_load_b32 v31, v1, s[72:73]
	global_load_b32 v35, v[32:33], off
	s_wait_loadcnt 0x3
	s_wait_xcnt 0x0
	v_mov_b32_e32 v32, v30
	s_add_nc_u64 s[74:75], s[74:75], -4
	s_cmp_eq_u32 s90, 0
	s_add_nc_u64 s[72:73], s[72:73], -4
	s_wait_loadcnt 0x2
	v_mov_b32_e32 v33, v34
	s_wait_loadcnt 0x0
	v_pk_mul_f32 v[36:37], v[30:31], v[34:35]
	s_delay_alu instid0(VALU_DEP_1) | instskip(NEXT) | instid1(VALU_DEP_1)
	v_dual_mov_b32 v34, v31 :: v_dual_sub_f32 v29, v36, v37
	v_pk_mul_f32 v[30:31], v[32:33], v[34:35]
	v_add_nc_u64_e32 v[32:33], s[70:71], v[24:25]
	s_sub_nc_u64 s[70:71], s[70:71], s[42:43]
	s_delay_alu instid0(VALU_DEP_2)
	v_add_f32_e32 v30, v30, v31
	global_store_b32 v[32:33], v29, off
	s_cbranch_scc0 .LBB4_52
	s_branch .LBB4_49
.LBB4_53:                               ;   in Loop: Header=BB4_4 Depth=1
	s_or_b32 exec_lo, exec_lo, s47
.LBB4_54:                               ;   in Loop: Header=BB4_4 Depth=1
	s_mov_b32 s47, 0
.LBB4_55:                               ;   in Loop: Header=BB4_4 Depth=1
	s_delay_alu instid0(SALU_CYCLE_1)
	s_and_not1_b32 vcc_lo, exec_lo, s47
	s_cbranch_vccnz .LBB4_62
; %bb.56:                               ;   in Loop: Header=BB4_4 Depth=1
	s_and_saveexec_b32 s47, s0
	s_cbranch_execz .LBB4_61
; %bb.57:                               ;   in Loop: Header=BB4_4 Depth=1
	v_mov_b32_e32 v24, v0
	s_lshl_b64 s[64:65], s[28:29], 2
	s_mov_b32 s70, 0
	s_add_nc_u64 s[64:65], s[56:57], s[64:65]
	s_branch .LBB4_59
.LBB4_58:                               ;   in Loop: Header=BB4_59 Depth=2
	v_ashrrev_i32_e32 v25, 31, v24
	v_add_nc_u64_e32 v[22:23], s[40:41], v[22:23]
	s_delay_alu instid0(VALU_DEP_2)
	v_lshl_add_u64 v[28:29], v[24:25], 2, s[64:65]
	s_wait_xcnt 0x0
	v_add_nc_u32_e32 v24, s12, v24
	s_wait_loadcnt 0x0
	global_store_b32 v[28:29], v26, off
	v_cmp_le_i32_e32 vcc_lo, s15, v24
	s_or_b32 s70, vcc_lo, s70
	s_wait_xcnt 0x0
	s_and_not1_b32 exec_lo, exec_lo, s70
	s_cbranch_execz .LBB4_61
.LBB4_59:                               ;   Parent Loop BB4_4 Depth=1
                                        ; =>  This Loop Header: Depth=2
                                        ;       Child Loop BB4_60 Depth 3
	global_load_b32 v26, v24, s[56:57] scale_offset
	v_mov_b64_e32 v[28:29], v[22:23]
	s_and_not1_b32 vcc_lo, exec_lo, s87
	s_mov_b64 s[66:67], s[54:55]
	s_mov_b64 s[68:69], s[52:53]
	s_mov_b32 s71, s26
	s_cbranch_vccnz .LBB4_58
.LBB4_60:                               ;   Parent Loop BB4_4 Depth=1
                                        ;     Parent Loop BB4_59 Depth=2
                                        ; =>    This Inner Loop Header: Depth=3
	s_delay_alu instid0(VALU_DEP_1)
	v_add_nc_u64_e32 v[30:31], s[42:43], v[28:29]
	s_add_co_i32 s71, s71, -1
	s_clause 0x1
	global_load_b32 v32, v1, s[68:69]
	global_load_b32 v27, v1, s[66:67]
	global_load_b32 v33, v[30:31], off
	s_wait_loadcnt 0x3
	v_mov_b32_e32 v35, v26
	s_wait_xcnt 0x2
	s_add_nc_u64 s[68:69], s[68:69], 4
	s_cmp_eq_u32 s71, 0
	s_wait_xcnt 0x1
	s_add_nc_u64 s[66:67], s[66:67], 4
	s_wait_loadcnt 0x2
	v_mov_b32_e32 v34, v32
	s_wait_loadcnt 0x0
	v_pk_mul_f32 v[36:37], v[26:27], v[32:33]
	s_delay_alu instid0(VALU_DEP_1) | instskip(NEXT) | instid1(VALU_DEP_1)
	v_dual_mov_b32 v26, v33 :: v_dual_add_f32 v25, v36, v37
	v_pk_mul_f32 v[26:27], v[34:35], v[26:27]
	global_store_b32 v[28:29], v25, off
	s_wait_xcnt 0x0
	v_mov_b64_e32 v[28:29], v[30:31]
	v_sub_f32_e32 v26, v26, v27
	s_cbranch_scc0 .LBB4_60
	s_branch .LBB4_58
.LBB4_61:                               ;   in Loop: Header=BB4_4 Depth=1
	s_or_b32 exec_lo, exec_lo, s47
.LBB4_62:                               ;   in Loop: Header=BB4_4 Depth=1
	s_mov_b32 s47, 0
.LBB4_63:                               ;   in Loop: Header=BB4_4 Depth=1
	s_delay_alu instid0(SALU_CYCLE_1)
	s_and_not1_b32 vcc_lo, exec_lo, s47
	s_cbranch_vccnz .LBB4_70
; %bb.64:                               ;   in Loop: Header=BB4_4 Depth=1
	s_and_saveexec_b32 s47, s1
	s_cbranch_execz .LBB4_69
; %bb.65:                               ;   in Loop: Header=BB4_4 Depth=1
	v_add_nc_u64_e32 v[22:23], s[62:63], v[12:13]
	v_mov_b32_e32 v24, v0
	s_lshl_b64 s[64:65], s[30:31], 2
	s_mov_b32 s70, 0
	s_add_nc_u64 s[64:65], s[56:57], s[64:65]
	s_branch .LBB4_67
.LBB4_66:                               ;   in Loop: Header=BB4_67 Depth=2
	v_add_nc_u32_e32 v24, s12, v24
	v_add_nc_u64_e32 v[22:23], s[50:51], v[22:23]
	s_wait_loadcnt 0x0
	global_store_b32 v[26:27], v28, off offset:-4
	v_cmp_le_i32_e32 vcc_lo, s23, v24
	s_or_b32 s70, vcc_lo, s70
	s_wait_xcnt 0x0
	s_and_not1_b32 exec_lo, exec_lo, s70
	s_cbranch_execz .LBB4_69
.LBB4_67:                               ;   Parent Loop BB4_4 Depth=1
                                        ; =>  This Loop Header: Depth=2
                                        ;       Child Loop BB4_68 Depth 3
	v_ashrrev_i32_e32 v25, 31, v24
	v_mov_b64_e32 v[30:31], v[22:23]
	s_and_not1_b32 vcc_lo, exec_lo, s88
	s_mov_b64 s[66:67], s[60:61]
	s_mov_b64 s[68:69], s[58:59]
	v_mul_u64_e32 v[26:27], s[20:21], v[24:25]
	s_mov_b32 s71, s46
	s_delay_alu instid0(VALU_DEP_1)
	v_lshl_add_u64 v[26:27], v[26:27], 2, s[64:65]
	global_load_b32 v28, v[26:27], off offset:-4
	s_cbranch_vccnz .LBB4_66
.LBB4_68:                               ;   Parent Loop BB4_4 Depth=1
                                        ;     Parent Loop BB4_67 Depth=2
                                        ; =>    This Inner Loop Header: Depth=3
	s_clause 0x1
	global_load_b32 v29, v1, s[68:69]
	global_load_b32 v32, v1, s[66:67]
	global_load_b32 v33, v[30:31], off
	s_wait_loadcnt 0x3
	v_mov_b32_e32 v34, v28
	s_add_co_i32 s71, s71, -1
	s_wait_xcnt 0x2
	s_add_nc_u64 s[68:69], s[68:69], -4
	s_cmp_eq_u32 s71, 0
	s_wait_xcnt 0x1
	s_add_nc_u64 s[66:67], s[66:67], -4
	s_wait_loadcnt 0x1
	v_mov_b32_e32 v35, v32
	s_wait_loadcnt 0x0
	v_pk_mul_f32 v[36:37], v[28:29], v[32:33]
	s_delay_alu instid0(VALU_DEP_1) | instskip(NEXT) | instid1(VALU_DEP_1)
	v_dual_mov_b32 v32, v29 :: v_dual_add_f32 v25, v36, v37
	v_pk_mul_f32 v[28:29], v[34:35], v[32:33]
	global_store_b32 v[30:31], v25, off
	s_wait_xcnt 0x0
	v_add_nc_u64_e32 v[30:31], -4, v[30:31]
	v_sub_f32_e32 v28, v28, v29
	s_cbranch_scc0 .LBB4_68
	s_branch .LBB4_66
.LBB4_69:                               ;   in Loop: Header=BB4_4 Depth=1
	s_or_b32 exec_lo, exec_lo, s47
.LBB4_70:                               ;   in Loop: Header=BB4_4 Depth=1
	s_mov_b32 s47, 0
.LBB4_71:                               ;   in Loop: Header=BB4_4 Depth=1
	s_delay_alu instid0(SALU_CYCLE_1)
	s_and_not1_b32 vcc_lo, exec_lo, s47
	s_cbranch_vccnz .LBB4_78
; %bb.72:                               ;   in Loop: Header=BB4_4 Depth=1
	s_and_saveexec_b32 s47, s1
	s_cbranch_execz .LBB4_77
; %bb.73:                               ;   in Loop: Header=BB4_4 Depth=1
	v_add_nc_u64_e32 v[22:23], s[62:63], v[10:11]
	v_mov_b32_e32 v24, v0
	s_lshl_b64 s[64:65], s[30:31], 2
	s_mov_b32 s70, 0
	s_add_nc_u64 s[64:65], s[56:57], s[64:65]
	s_branch .LBB4_75
.LBB4_74:                               ;   in Loop: Header=BB4_75 Depth=2
	v_add_nc_u32_e32 v24, s12, v24
	v_add_nc_u64_e32 v[22:23], s[50:51], v[22:23]
	s_wait_loadcnt 0x0
	global_store_b32 v[26:27], v28, off offset:-4
	v_cmp_le_i32_e32 vcc_lo, s23, v24
	s_or_b32 s70, vcc_lo, s70
	s_wait_xcnt 0x0
	s_and_not1_b32 exec_lo, exec_lo, s70
	s_cbranch_execz .LBB4_77
.LBB4_75:                               ;   Parent Loop BB4_4 Depth=1
                                        ; =>  This Loop Header: Depth=2
                                        ;       Child Loop BB4_76 Depth 3
	v_ashrrev_i32_e32 v25, 31, v24
	v_mov_b64_e32 v[30:31], v[22:23]
	s_and_not1_b32 vcc_lo, exec_lo, s88
	s_mov_b64 s[66:67], s[54:55]
	s_mov_b64 s[68:69], s[52:53]
	v_mul_u64_e32 v[26:27], s[20:21], v[24:25]
	s_mov_b32 s71, s46
	s_delay_alu instid0(VALU_DEP_1)
	v_lshl_add_u64 v[26:27], v[26:27], 2, s[64:65]
	global_load_b32 v28, v[26:27], off offset:-4
	s_cbranch_vccnz .LBB4_74
.LBB4_76:                               ;   Parent Loop BB4_4 Depth=1
                                        ;     Parent Loop BB4_75 Depth=2
                                        ; =>    This Inner Loop Header: Depth=3
	s_clause 0x1
	global_load_b32 v29, v1, s[68:69]
	global_load_b32 v32, v1, s[66:67]
	global_load_b32 v33, v[30:31], off
	s_wait_loadcnt 0x3
	v_mov_b32_e32 v34, v28
	s_add_co_i32 s71, s71, -1
	s_wait_xcnt 0x2
	s_add_nc_u64 s[68:69], s[68:69], 4
	s_cmp_eq_u32 s71, 0
	s_wait_xcnt 0x1
	s_add_nc_u64 s[66:67], s[66:67], 4
	s_wait_loadcnt 0x1
	v_mov_b32_e32 v35, v32
	s_wait_loadcnt 0x0
	v_pk_mul_f32 v[36:37], v[28:29], v[32:33]
	s_delay_alu instid0(VALU_DEP_1) | instskip(NEXT) | instid1(VALU_DEP_1)
	v_dual_mov_b32 v32, v29 :: v_dual_add_f32 v25, v36, v37
	v_pk_mul_f32 v[28:29], v[34:35], v[32:33]
	global_store_b32 v[30:31], v25, off
	s_wait_xcnt 0x0
	v_add_nc_u64_e32 v[30:31], 4, v[30:31]
	v_sub_f32_e32 v28, v28, v29
	s_cbranch_scc0 .LBB4_76
	s_branch .LBB4_74
.LBB4_77:                               ;   in Loop: Header=BB4_4 Depth=1
	s_or_b32 exec_lo, exec_lo, s47
.LBB4_78:                               ;   in Loop: Header=BB4_4 Depth=1
	s_mov_b32 s47, 0
.LBB4_79:                               ;   in Loop: Header=BB4_4 Depth=1
	s_delay_alu instid0(SALU_CYCLE_1)
	s_and_not1_b32 vcc_lo, exec_lo, s47
	s_cbranch_vccnz .LBB4_86
; %bb.80:                               ;   in Loop: Header=BB4_4 Depth=1
	s_and_saveexec_b32 s47, s1
	s_cbranch_execz .LBB4_85
; %bb.81:                               ;   in Loop: Header=BB4_4 Depth=1
	v_add_nc_u64_e32 v[22:23], s[62:63], v[14:15]
	v_mov_b32_e32 v24, v0
	s_mov_b32 s68, 0
	s_branch .LBB4_83
.LBB4_82:                               ;   in Loop: Header=BB4_83 Depth=2
	v_add_nc_u32_e32 v24, s12, v24
	v_add_nc_u64_e32 v[22:23], s[50:51], v[22:23]
	s_wait_loadcnt 0x0
	global_store_b32 v[26:27], v29, off
	v_cmp_le_i32_e32 vcc_lo, s23, v24
	s_or_b32 s68, vcc_lo, s68
	s_wait_xcnt 0x0
	s_and_not1_b32 exec_lo, exec_lo, s68
	s_cbranch_execz .LBB4_85
.LBB4_83:                               ;   Parent Loop BB4_4 Depth=1
                                        ; =>  This Loop Header: Depth=2
                                        ;       Child Loop BB4_84 Depth 3
	s_delay_alu instid0(VALU_DEP_1) | instskip(NEXT) | instid1(VALU_DEP_3)
	v_ashrrev_i32_e32 v25, 31, v24
	v_mov_b64_e32 v[30:31], v[22:23]
	s_and_not1_b32 vcc_lo, exec_lo, s88
	s_mov_b64 s[64:65], s[60:61]
	s_mov_b64 s[66:67], s[58:59]
	v_mul_u64_e32 v[26:27], s[20:21], v[24:25]
	s_mov_b32 s69, s13
	s_delay_alu instid0(VALU_DEP_1)
	v_lshl_add_u64 v[26:27], v[26:27], 2, s[56:57]
	global_load_b32 v29, v[26:27], off
	s_cbranch_vccnz .LBB4_82
.LBB4_84:                               ;   Parent Loop BB4_4 Depth=1
                                        ;     Parent Loop BB4_83 Depth=2
                                        ; =>    This Inner Loop Header: Depth=3
	s_clause 0x1
	global_load_b32 v28, v1, s[66:67]
	global_load_b32 v33, v1, s[64:65]
	global_load_b32 v32, v[30:31], off
	s_wait_loadcnt 0x3
	v_mov_b32_e32 v34, v29
	s_add_co_i32 s69, s69, -1
	s_wait_xcnt 0x2
	s_add_nc_u64 s[66:67], s[66:67], -4
	s_cmp_lt_u32 s69, 3
	s_wait_xcnt 0x1
	s_add_nc_u64 s[64:65], s[64:65], -4
	s_wait_loadcnt 0x1
	v_mov_b32_e32 v35, v33
	s_wait_loadcnt 0x0
	v_pk_mul_f32 v[36:37], v[28:29], v[32:33]
	v_mov_b32_e32 v29, v32
	s_delay_alu instid0(VALU_DEP_2) | instskip(NEXT) | instid1(VALU_DEP_2)
	v_sub_f32_e32 v25, v36, v37
	v_pk_mul_f32 v[28:29], v[34:35], v[28:29]
	global_store_b32 v[30:31], v25, off
	s_wait_xcnt 0x0
	v_add_nc_u64_e32 v[30:31], -4, v[30:31]
	v_add_f32_e32 v29, v28, v29
	s_cbranch_scc0 .LBB4_84
	s_branch .LBB4_82
.LBB4_85:                               ;   in Loop: Header=BB4_4 Depth=1
	s_or_b32 exec_lo, exec_lo, s47
.LBB4_86:                               ;   in Loop: Header=BB4_4 Depth=1
	s_mov_b32 s47, 0
.LBB4_87:                               ;   in Loop: Header=BB4_4 Depth=1
	s_delay_alu instid0(SALU_CYCLE_1)
	s_and_not1_b32 vcc_lo, exec_lo, s47
	s_cbranch_vccnz .LBB4_94
; %bb.88:                               ;   in Loop: Header=BB4_4 Depth=1
	s_and_saveexec_b32 s47, s1
	s_cbranch_execz .LBB4_93
; %bb.89:                               ;   in Loop: Header=BB4_4 Depth=1
	v_mov_b64_e32 v[22:23], v[20:21]
	v_mov_b32_e32 v24, v0
	s_mov_b32 s68, 0
	s_branch .LBB4_91
.LBB4_90:                               ;   in Loop: Header=BB4_91 Depth=2
	v_add_nc_u32_e32 v24, s12, v24
	v_add_nc_u64_e32 v[22:23], s[50:51], v[22:23]
	s_wait_loadcnt 0x0
	global_store_b32 v[26:27], v29, off
	v_cmp_le_i32_e32 vcc_lo, s23, v24
	s_or_b32 s68, vcc_lo, s68
	s_wait_xcnt 0x0
	s_and_not1_b32 exec_lo, exec_lo, s68
	s_cbranch_execz .LBB4_93
.LBB4_91:                               ;   Parent Loop BB4_4 Depth=1
                                        ; =>  This Loop Header: Depth=2
                                        ;       Child Loop BB4_92 Depth 3
	s_delay_alu instid0(VALU_DEP_1) | instskip(NEXT) | instid1(VALU_DEP_3)
	v_ashrrev_i32_e32 v25, 31, v24
	v_mov_b64_e32 v[30:31], v[22:23]
	s_and_not1_b32 vcc_lo, exec_lo, s88
	s_mov_b32 s69, s46
	s_mov_b64 s[64:65], s[52:53]
	v_mul_u64_e32 v[26:27], s[20:21], v[24:25]
	s_mov_b64 s[66:67], s[54:55]
	s_delay_alu instid0(VALU_DEP_1)
	v_lshl_add_u64 v[26:27], v[26:27], 2, s[56:57]
	global_load_b32 v29, v[26:27], off
	s_cbranch_vccnz .LBB4_90
.LBB4_92:                               ;   Parent Loop BB4_4 Depth=1
                                        ;     Parent Loop BB4_91 Depth=2
                                        ; =>    This Inner Loop Header: Depth=3
	s_clause 0x1
	global_load_b32 v28, v1, s[64:65]
	global_load_b32 v33, v1, s[66:67]
	global_load_b32 v32, v[30:31], off
	s_wait_loadcnt 0x3
	v_mov_b32_e32 v34, v29
	s_add_co_i32 s69, s69, -1
	s_wait_xcnt 0x1
	s_add_nc_u64 s[66:67], s[66:67], 4
	s_cmp_eq_u32 s69, 0
	s_add_nc_u64 s[64:65], s[64:65], 4
	s_wait_loadcnt 0x1
	v_mov_b32_e32 v35, v33
	s_wait_loadcnt 0x0
	v_pk_mul_f32 v[36:37], v[28:29], v[32:33]
	v_mov_b32_e32 v29, v32
	s_delay_alu instid0(VALU_DEP_2) | instskip(NEXT) | instid1(VALU_DEP_2)
	v_sub_f32_e32 v25, v36, v37
	v_pk_mul_f32 v[28:29], v[34:35], v[28:29]
	global_store_b32 v[30:31], v25, off
	s_wait_xcnt 0x0
	v_add_nc_u64_e32 v[30:31], 4, v[30:31]
	v_add_f32_e32 v29, v28, v29
	s_cbranch_scc0 .LBB4_92
	s_branch .LBB4_90
.LBB4_93:                               ;   in Loop: Header=BB4_4 Depth=1
	s_or_b32 exec_lo, exec_lo, s47
.LBB4_94:                               ;   in Loop: Header=BB4_4 Depth=1
	s_mov_b32 s47, 0
.LBB4_95:                               ;   in Loop: Header=BB4_4 Depth=1
	s_delay_alu instid0(SALU_CYCLE_1)
	s_and_not1_b32 vcc_lo, exec_lo, s47
	s_cbranch_vccnz .LBB4_102
; %bb.96:                               ;   in Loop: Header=BB4_4 Depth=1
	s_and_saveexec_b32 s47, s1
	s_cbranch_execz .LBB4_101
; %bb.97:                               ;   in Loop: Header=BB4_4 Depth=1
	v_add_nc_u64_e32 v[22:23], s[62:63], v[18:19]
	v_mov_b32_e32 v24, v0
	s_lshl_b64 s[62:63], s[30:31], 2
	s_mov_b32 s68, 0
	s_add_nc_u64 s[62:63], s[56:57], s[62:63]
	s_branch .LBB4_99
.LBB4_98:                               ;   in Loop: Header=BB4_99 Depth=2
	v_add_nc_u32_e32 v24, s12, v24
	v_add_nc_u64_e32 v[22:23], s[50:51], v[22:23]
	v_lshl_add_u64 v[26:27], v[26:27], 2, s[56:57]
	s_delay_alu instid0(VALU_DEP_3)
	v_cmp_le_i32_e32 vcc_lo, s23, v24
	s_wait_loadcnt 0x0
	global_store_b32 v[26:27], v28, off
	s_or_b32 s68, vcc_lo, s68
	s_wait_xcnt 0x0
	s_and_not1_b32 exec_lo, exec_lo, s68
	s_cbranch_execz .LBB4_101
.LBB4_99:                               ;   Parent Loop BB4_4 Depth=1
                                        ; =>  This Loop Header: Depth=2
                                        ;       Child Loop BB4_100 Depth 3
	v_ashrrev_i32_e32 v25, 31, v24
	v_mov_b64_e32 v[30:31], v[22:23]
	s_and_not1_b32 vcc_lo, exec_lo, s88
	s_mov_b64 s[64:65], s[60:61]
	s_mov_b64 s[66:67], s[58:59]
	v_mul_u64_e32 v[26:27], s[20:21], v[24:25]
	s_mov_b32 s69, s46
	s_delay_alu instid0(VALU_DEP_1)
	v_lshl_add_u64 v[28:29], v[26:27], 2, s[62:63]
	global_load_b32 v28, v[28:29], off offset:-4
	s_cbranch_vccnz .LBB4_98
.LBB4_100:                              ;   Parent Loop BB4_4 Depth=1
                                        ;     Parent Loop BB4_99 Depth=2
                                        ; =>    This Inner Loop Header: Depth=3
	s_clause 0x1
	global_load_b32 v32, v1, s[66:67]
	global_load_b32 v29, v1, s[64:65]
	global_load_b32 v33, v[30:31], off offset:-4
	s_wait_loadcnt 0x3
	v_mov_b32_e32 v34, v28
	v_add_nc_u64_e32 v[38:39], -4, v[30:31]
	s_add_co_i32 s69, s69, -1
	s_wait_xcnt 0x2
	s_add_nc_u64 s[66:67], s[66:67], -4
	s_cmp_eq_u32 s69, 0
	s_wait_xcnt 0x1
	s_add_nc_u64 s[64:65], s[64:65], -4
	s_wait_loadcnt 0x2
	v_mov_b32_e32 v35, v32
	s_wait_loadcnt 0x0
	v_pk_mul_f32 v[36:37], v[28:29], v[32:33]
	s_delay_alu instid0(VALU_DEP_1) | instskip(NEXT) | instid1(VALU_DEP_1)
	v_dual_mov_b32 v32, v29 :: v_dual_sub_f32 v25, v36, v37
	v_pk_mul_f32 v[28:29], v[34:35], v[32:33]
	global_store_b32 v[30:31], v25, off
	s_wait_xcnt 0x0
	v_mov_b64_e32 v[30:31], v[38:39]
	v_add_f32_e32 v28, v28, v29
	s_cbranch_scc0 .LBB4_100
	s_branch .LBB4_98
.LBB4_101:                              ;   in Loop: Header=BB4_4 Depth=1
	s_or_b32 exec_lo, exec_lo, s47
.LBB4_102:                              ;   in Loop: Header=BB4_4 Depth=1
	s_cbranch_execnz .LBB4_3
.LBB4_103:                              ;   in Loop: Header=BB4_4 Depth=1
	s_and_saveexec_b32 s47, s1
	s_cbranch_execz .LBB4_2
; %bb.104:                              ;   in Loop: Header=BB4_4 Depth=1
	v_mov_b32_e32 v22, v0
	s_lshl_b64 s[58:59], s[30:31], 2
	s_mov_b32 s64, 0
	s_add_nc_u64 s[58:59], s[56:57], s[58:59]
	s_branch .LBB4_106
.LBB4_105:                              ;   in Loop: Header=BB4_106 Depth=2
	v_add_nc_u32_e32 v22, s12, v22
	v_add_nc_u64_e32 v[20:21], s[50:51], v[20:21]
	v_lshl_add_u64 v[24:25], v[24:25], 2, s[58:59]
	s_delay_alu instid0(VALU_DEP_3)
	v_cmp_le_i32_e32 vcc_lo, s23, v22
	s_wait_loadcnt 0x0
	global_store_b32 v[24:25], v26, off offset:-4
	s_or_b32 s64, vcc_lo, s64
	s_wait_xcnt 0x0
	s_and_not1_b32 exec_lo, exec_lo, s64
	s_cbranch_execz .LBB4_2
.LBB4_106:                              ;   Parent Loop BB4_4 Depth=1
                                        ; =>  This Loop Header: Depth=2
                                        ;       Child Loop BB4_107 Depth 3
	v_ashrrev_i32_e32 v23, 31, v22
	v_mov_b64_e32 v[28:29], v[20:21]
	s_and_not1_b32 vcc_lo, exec_lo, s88
	s_mov_b64 s[60:61], s[54:55]
	s_mov_b64 s[62:63], s[52:53]
	v_mul_u64_e32 v[24:25], s[20:21], v[22:23]
	s_mov_b32 s65, s46
	s_delay_alu instid0(VALU_DEP_1)
	v_lshl_add_u64 v[26:27], v[24:25], 2, s[56:57]
	global_load_b32 v26, v[26:27], off
	s_cbranch_vccnz .LBB4_105
.LBB4_107:                              ;   Parent Loop BB4_4 Depth=1
                                        ;     Parent Loop BB4_106 Depth=2
                                        ; =>    This Inner Loop Header: Depth=3
	s_clause 0x1
	global_load_b32 v30, v1, s[62:63]
	global_load_b32 v27, v1, s[60:61]
	global_load_b32 v31, v[28:29], off
	s_wait_loadcnt 0x3
	v_mov_b32_e32 v33, v26
	s_add_co_i32 s65, s65, -1
	s_wait_xcnt 0x2
	s_add_nc_u64 s[62:63], s[62:63], 4
	s_cmp_eq_u32 s65, 0
	s_wait_xcnt 0x1
	s_add_nc_u64 s[60:61], s[60:61], 4
	s_wait_loadcnt 0x2
	v_mov_b32_e32 v32, v30
	s_wait_loadcnt 0x0
	v_pk_mul_f32 v[34:35], v[26:27], v[30:31]
	s_delay_alu instid0(VALU_DEP_1) | instskip(NEXT) | instid1(VALU_DEP_1)
	v_dual_mov_b32 v26, v31 :: v_dual_add_f32 v23, v34, v35
	v_pk_mul_f32 v[26:27], v[32:33], v[26:27]
	global_store_b32 v[28:29], v23, off offset:-4
	s_wait_xcnt 0x0
	v_add_nc_u64_e32 v[28:29], 4, v[28:29]
	v_sub_f32_e32 v26, v26, v27
	s_cbranch_scc0 .LBB4_107
	s_branch .LBB4_105
.LBB4_108:
	s_endpgm
	.section	.rodata,"a",@progbits
	.p2align	6, 0x0
	.amdhsa_kernel _ZN9rocsolver6v33100L11lasr_kernelIffPfiEEv13rocblas_side_14rocblas_pivot_15rocblas_direct_T2_S6_PT0_lS8_lT1_lS6_lS6_
		.amdhsa_group_segment_fixed_size 0
		.amdhsa_private_segment_fixed_size 0
		.amdhsa_kernarg_size 352
		.amdhsa_user_sgpr_count 2
		.amdhsa_user_sgpr_dispatch_ptr 0
		.amdhsa_user_sgpr_queue_ptr 0
		.amdhsa_user_sgpr_kernarg_segment_ptr 1
		.amdhsa_user_sgpr_dispatch_id 0
		.amdhsa_user_sgpr_kernarg_preload_length 0
		.amdhsa_user_sgpr_kernarg_preload_offset 0
		.amdhsa_user_sgpr_private_segment_size 0
		.amdhsa_wavefront_size32 1
		.amdhsa_uses_dynamic_stack 0
		.amdhsa_enable_private_segment 0
		.amdhsa_system_sgpr_workgroup_id_x 1
		.amdhsa_system_sgpr_workgroup_id_y 0
		.amdhsa_system_sgpr_workgroup_id_z 1
		.amdhsa_system_sgpr_workgroup_info 0
		.amdhsa_system_vgpr_workitem_id 0
		.amdhsa_next_free_vgpr 42
		.amdhsa_next_free_sgpr 91
		.amdhsa_named_barrier_count 0
		.amdhsa_reserve_vcc 1
		.amdhsa_float_round_mode_32 0
		.amdhsa_float_round_mode_16_64 0
		.amdhsa_float_denorm_mode_32 3
		.amdhsa_float_denorm_mode_16_64 3
		.amdhsa_fp16_overflow 0
		.amdhsa_memory_ordered 1
		.amdhsa_forward_progress 1
		.amdhsa_inst_pref_size 35
		.amdhsa_round_robin_scheduling 0
		.amdhsa_exception_fp_ieee_invalid_op 0
		.amdhsa_exception_fp_denorm_src 0
		.amdhsa_exception_fp_ieee_div_zero 0
		.amdhsa_exception_fp_ieee_overflow 0
		.amdhsa_exception_fp_ieee_underflow 0
		.amdhsa_exception_fp_ieee_inexact 0
		.amdhsa_exception_int_div_zero 0
	.end_amdhsa_kernel
	.section	.text._ZN9rocsolver6v33100L11lasr_kernelIffPfiEEv13rocblas_side_14rocblas_pivot_15rocblas_direct_T2_S6_PT0_lS8_lT1_lS6_lS6_,"axG",@progbits,_ZN9rocsolver6v33100L11lasr_kernelIffPfiEEv13rocblas_side_14rocblas_pivot_15rocblas_direct_T2_S6_PT0_lS8_lT1_lS6_lS6_,comdat
.Lfunc_end4:
	.size	_ZN9rocsolver6v33100L11lasr_kernelIffPfiEEv13rocblas_side_14rocblas_pivot_15rocblas_direct_T2_S6_PT0_lS8_lT1_lS6_lS6_, .Lfunc_end4-_ZN9rocsolver6v33100L11lasr_kernelIffPfiEEv13rocblas_side_14rocblas_pivot_15rocblas_direct_T2_S6_PT0_lS8_lT1_lS6_lS6_
                                        ; -- End function
	.set _ZN9rocsolver6v33100L11lasr_kernelIffPfiEEv13rocblas_side_14rocblas_pivot_15rocblas_direct_T2_S6_PT0_lS8_lT1_lS6_lS6_.num_vgpr, 42
	.set _ZN9rocsolver6v33100L11lasr_kernelIffPfiEEv13rocblas_side_14rocblas_pivot_15rocblas_direct_T2_S6_PT0_lS8_lT1_lS6_lS6_.num_agpr, 0
	.set _ZN9rocsolver6v33100L11lasr_kernelIffPfiEEv13rocblas_side_14rocblas_pivot_15rocblas_direct_T2_S6_PT0_lS8_lT1_lS6_lS6_.numbered_sgpr, 91
	.set _ZN9rocsolver6v33100L11lasr_kernelIffPfiEEv13rocblas_side_14rocblas_pivot_15rocblas_direct_T2_S6_PT0_lS8_lT1_lS6_lS6_.num_named_barrier, 0
	.set _ZN9rocsolver6v33100L11lasr_kernelIffPfiEEv13rocblas_side_14rocblas_pivot_15rocblas_direct_T2_S6_PT0_lS8_lT1_lS6_lS6_.private_seg_size, 0
	.set _ZN9rocsolver6v33100L11lasr_kernelIffPfiEEv13rocblas_side_14rocblas_pivot_15rocblas_direct_T2_S6_PT0_lS8_lT1_lS6_lS6_.uses_vcc, 1
	.set _ZN9rocsolver6v33100L11lasr_kernelIffPfiEEv13rocblas_side_14rocblas_pivot_15rocblas_direct_T2_S6_PT0_lS8_lT1_lS6_lS6_.uses_flat_scratch, 0
	.set _ZN9rocsolver6v33100L11lasr_kernelIffPfiEEv13rocblas_side_14rocblas_pivot_15rocblas_direct_T2_S6_PT0_lS8_lT1_lS6_lS6_.has_dyn_sized_stack, 0
	.set _ZN9rocsolver6v33100L11lasr_kernelIffPfiEEv13rocblas_side_14rocblas_pivot_15rocblas_direct_T2_S6_PT0_lS8_lT1_lS6_lS6_.has_recursion, 0
	.set _ZN9rocsolver6v33100L11lasr_kernelIffPfiEEv13rocblas_side_14rocblas_pivot_15rocblas_direct_T2_S6_PT0_lS8_lT1_lS6_lS6_.has_indirect_call, 0
	.section	.AMDGPU.csdata,"",@progbits
; Kernel info:
; codeLenInByte = 4396
; TotalNumSgprs: 93
; NumVgprs: 42
; ScratchSize: 0
; MemoryBound: 0
; FloatMode: 240
; IeeeMode: 1
; LDSByteSize: 0 bytes/workgroup (compile time only)
; SGPRBlocks: 0
; VGPRBlocks: 2
; NumSGPRsForWavesPerEU: 93
; NumVGPRsForWavesPerEU: 42
; NamedBarCnt: 0
; Occupancy: 16
; WaveLimiterHint : 0
; COMPUTE_PGM_RSRC2:SCRATCH_EN: 0
; COMPUTE_PGM_RSRC2:USER_SGPR: 2
; COMPUTE_PGM_RSRC2:TRAP_HANDLER: 0
; COMPUTE_PGM_RSRC2:TGID_X_EN: 1
; COMPUTE_PGM_RSRC2:TGID_Y_EN: 0
; COMPUTE_PGM_RSRC2:TGID_Z_EN: 1
; COMPUTE_PGM_RSRC2:TIDIG_COMP_CNT: 0
	.section	.text._ZN9rocsolver6v33100L11swap_kernelIfiEEvT0_PT_S2_S4_S2_,"axG",@progbits,_ZN9rocsolver6v33100L11swap_kernelIfiEEvT0_PT_S2_S4_S2_,comdat
	.globl	_ZN9rocsolver6v33100L11swap_kernelIfiEEvT0_PT_S2_S4_S2_ ; -- Begin function _ZN9rocsolver6v33100L11swap_kernelIfiEEvT0_PT_S2_S4_S2_
	.p2align	8
	.type	_ZN9rocsolver6v33100L11swap_kernelIfiEEvT0_PT_S2_S4_S2_,@function
_ZN9rocsolver6v33100L11swap_kernelIfiEEvT0_PT_S2_S4_S2_: ; @_ZN9rocsolver6v33100L11swap_kernelIfiEEvT0_PT_S2_S4_S2_
; %bb.0:
	s_load_b32 s12, s[0:1], 0x0
	s_wait_kmcnt 0x0
	s_cmp_lt_i32 s12, 1
	s_cbranch_scc1 .LBB5_10
; %bb.1:
	s_clause 0x2
	s_load_b32 s2, s[0:1], 0x34
	s_load_b96 s[4:6], s[0:1], 0x8
	s_load_b96 s[8:10], s[0:1], 0x18
	s_bfe_u32 s3, ttmp6, 0x4000c
	s_wait_xcnt 0x0
	s_load_b32 s0, s[0:1], 0x28
	s_add_co_i32 s3, s3, 1
	s_wait_xcnt 0x0
	s_and_b32 s1, ttmp6, 15
	s_mul_i32 s3, ttmp9, s3
	s_getreg_b32 s7, hwreg(HW_REG_IB_STS2, 6, 4)
	s_add_co_i32 s1, s1, s3
	s_wait_kmcnt 0x0
	s_and_b32 s2, s2, 0xffff
	s_cmp_eq_u32 s7, 0
	s_cselect_b32 s1, ttmp9, s1
	s_cmp_eq_u32 s6, 1
	v_mad_u32 v0, s1, s2, v0
	s_cselect_b32 s1, -1, 0
	s_cmp_eq_u32 s10, 1
	s_mul_i32 s2, s0, s2
	s_cselect_b32 s3, -1, 0
	s_delay_alu instid0(SALU_CYCLE_1) | instskip(NEXT) | instid1(SALU_CYCLE_1)
	s_and_b32 s1, s1, s3
	s_and_b32 vcc_lo, exec_lo, s1
	s_mov_b32 s1, -1
	s_delay_alu instid0(VALU_DEP_1)
	v_cmp_gt_i32_e64 s0, s12, v0
	s_cbranch_vccnz .LBB5_6
; %bb.2:
	s_and_saveexec_b32 s1, s0
	s_cbranch_execz .LBB5_5
; %bb.3:
	v_ashrrev_i32_e32 v1, 31, v0
	s_ashr_i32 s7, s6, 31
	s_ashr_i32 s11, s10, 31
	;; [unrolled: 1-line block ×3, first 2 shown]
	s_delay_alu instid0(SALU_CYCLE_1)
	s_mul_u64 s[14:15], s[6:7], s[2:3]
	v_mul_u64_e32 v[2:3], s[10:11], v[0:1]
	v_mul_u64_e32 v[4:5], s[6:7], v[0:1]
	v_mov_b32_e32 v1, v0
	s_mul_u64 s[10:11], s[10:11], s[2:3]
	s_mov_b32 s3, 0
	s_lshl_b64 s[6:7], s[10:11], 2
	s_lshl_b64 s[10:11], s[14:15], 2
	s_delay_alu instid0(VALU_DEP_3) | instskip(NEXT) | instid1(VALU_DEP_3)
	v_lshl_add_u64 v[2:3], v[2:3], 2, s[8:9]
	v_lshl_add_u64 v[4:5], v[4:5], 2, s[4:5]
.LBB5_4:                                ; =>This Inner Loop Header: Depth=1
	global_load_b32 v6, v[4:5], off
	global_load_b32 v7, v[2:3], off
	v_add_nc_u32_e32 v1, s2, v1
	s_wait_loadcnt 0x1
	global_store_b32 v[2:3], v6, off
	s_wait_loadcnt 0x0
	global_store_b32 v[4:5], v7, off
	v_cmp_le_i32_e32 vcc_lo, s12, v1
	s_wait_xcnt 0x1
	v_add_nc_u64_e32 v[2:3], s[6:7], v[2:3]
	s_wait_xcnt 0x0
	v_add_nc_u64_e32 v[4:5], s[10:11], v[4:5]
	s_or_b32 s3, vcc_lo, s3
	s_delay_alu instid0(SALU_CYCLE_1)
	s_and_not1_b32 exec_lo, exec_lo, s3
	s_cbranch_execnz .LBB5_4
.LBB5_5:
	s_or_b32 exec_lo, exec_lo, s1
	s_mov_b32 s1, 0
.LBB5_6:
	s_delay_alu instid0(SALU_CYCLE_1)
	s_and_not1_b32 vcc_lo, exec_lo, s1
	s_cbranch_vccnz .LBB5_10
; %bb.7:
	s_and_saveexec_b32 s1, s0
	s_cbranch_execz .LBB5_10
; %bb.8:
	v_ashrrev_i32_e32 v1, 31, v0
	s_ashr_i32 s3, s2, 31
	s_delay_alu instid0(SALU_CYCLE_1) | instskip(SKIP_1) | instid1(VALU_DEP_1)
	s_lshl_b64 s[0:1], s[2:3], 2
	s_mov_b32 s3, 0
	v_lshlrev_b64_e32 v[2:3], 2, v[0:1]
.LBB5_9:                                ; =>This Inner Loop Header: Depth=1
	s_delay_alu instid0(VALU_DEP_1)
	v_add_nc_u64_e32 v[4:5], s[4:5], v[2:3]
	v_add_nc_u64_e32 v[6:7], s[8:9], v[2:3]
	v_add_nc_u32_e32 v0, s2, v0
	v_add_nc_u64_e32 v[2:3], s[0:1], v[2:3]
	global_load_b32 v1, v[4:5], off
	global_load_b32 v8, v[6:7], off
	v_cmp_le_i32_e32 vcc_lo, s12, v0
	s_wait_loadcnt 0x1
	global_store_b32 v[6:7], v1, off
	s_wait_loadcnt 0x0
	global_store_b32 v[4:5], v8, off
	s_or_b32 s3, vcc_lo, s3
	s_wait_xcnt 0x0
	s_and_not1_b32 exec_lo, exec_lo, s3
	s_cbranch_execnz .LBB5_9
.LBB5_10:
	s_endpgm
	.section	.rodata,"a",@progbits
	.p2align	6, 0x0
	.amdhsa_kernel _ZN9rocsolver6v33100L11swap_kernelIfiEEvT0_PT_S2_S4_S2_
		.amdhsa_group_segment_fixed_size 0
		.amdhsa_private_segment_fixed_size 0
		.amdhsa_kernarg_size 296
		.amdhsa_user_sgpr_count 2
		.amdhsa_user_sgpr_dispatch_ptr 0
		.amdhsa_user_sgpr_queue_ptr 0
		.amdhsa_user_sgpr_kernarg_segment_ptr 1
		.amdhsa_user_sgpr_dispatch_id 0
		.amdhsa_user_sgpr_kernarg_preload_length 0
		.amdhsa_user_sgpr_kernarg_preload_offset 0
		.amdhsa_user_sgpr_private_segment_size 0
		.amdhsa_wavefront_size32 1
		.amdhsa_uses_dynamic_stack 0
		.amdhsa_enable_private_segment 0
		.amdhsa_system_sgpr_workgroup_id_x 1
		.amdhsa_system_sgpr_workgroup_id_y 0
		.amdhsa_system_sgpr_workgroup_id_z 0
		.amdhsa_system_sgpr_workgroup_info 0
		.amdhsa_system_vgpr_workitem_id 0
		.amdhsa_next_free_vgpr 9
		.amdhsa_next_free_sgpr 16
		.amdhsa_named_barrier_count 0
		.amdhsa_reserve_vcc 1
		.amdhsa_float_round_mode_32 0
		.amdhsa_float_round_mode_16_64 0
		.amdhsa_float_denorm_mode_32 3
		.amdhsa_float_denorm_mode_16_64 3
		.amdhsa_fp16_overflow 0
		.amdhsa_memory_ordered 1
		.amdhsa_forward_progress 1
		.amdhsa_inst_pref_size 4
		.amdhsa_round_robin_scheduling 0
		.amdhsa_exception_fp_ieee_invalid_op 0
		.amdhsa_exception_fp_denorm_src 0
		.amdhsa_exception_fp_ieee_div_zero 0
		.amdhsa_exception_fp_ieee_overflow 0
		.amdhsa_exception_fp_ieee_underflow 0
		.amdhsa_exception_fp_ieee_inexact 0
		.amdhsa_exception_int_div_zero 0
	.end_amdhsa_kernel
	.section	.text._ZN9rocsolver6v33100L11swap_kernelIfiEEvT0_PT_S2_S4_S2_,"axG",@progbits,_ZN9rocsolver6v33100L11swap_kernelIfiEEvT0_PT_S2_S4_S2_,comdat
.Lfunc_end5:
	.size	_ZN9rocsolver6v33100L11swap_kernelIfiEEvT0_PT_S2_S4_S2_, .Lfunc_end5-_ZN9rocsolver6v33100L11swap_kernelIfiEEvT0_PT_S2_S4_S2_
                                        ; -- End function
	.set _ZN9rocsolver6v33100L11swap_kernelIfiEEvT0_PT_S2_S4_S2_.num_vgpr, 9
	.set _ZN9rocsolver6v33100L11swap_kernelIfiEEvT0_PT_S2_S4_S2_.num_agpr, 0
	.set _ZN9rocsolver6v33100L11swap_kernelIfiEEvT0_PT_S2_S4_S2_.numbered_sgpr, 16
	.set _ZN9rocsolver6v33100L11swap_kernelIfiEEvT0_PT_S2_S4_S2_.num_named_barrier, 0
	.set _ZN9rocsolver6v33100L11swap_kernelIfiEEvT0_PT_S2_S4_S2_.private_seg_size, 0
	.set _ZN9rocsolver6v33100L11swap_kernelIfiEEvT0_PT_S2_S4_S2_.uses_vcc, 1
	.set _ZN9rocsolver6v33100L11swap_kernelIfiEEvT0_PT_S2_S4_S2_.uses_flat_scratch, 0
	.set _ZN9rocsolver6v33100L11swap_kernelIfiEEvT0_PT_S2_S4_S2_.has_dyn_sized_stack, 0
	.set _ZN9rocsolver6v33100L11swap_kernelIfiEEvT0_PT_S2_S4_S2_.has_recursion, 0
	.set _ZN9rocsolver6v33100L11swap_kernelIfiEEvT0_PT_S2_S4_S2_.has_indirect_call, 0
	.section	.AMDGPU.csdata,"",@progbits
; Kernel info:
; codeLenInByte = 500
; TotalNumSgprs: 18
; NumVgprs: 9
; ScratchSize: 0
; MemoryBound: 0
; FloatMode: 240
; IeeeMode: 1
; LDSByteSize: 0 bytes/workgroup (compile time only)
; SGPRBlocks: 0
; VGPRBlocks: 0
; NumSGPRsForWavesPerEU: 18
; NumVGPRsForWavesPerEU: 9
; NamedBarCnt: 0
; Occupancy: 16
; WaveLimiterHint : 0
; COMPUTE_PGM_RSRC2:SCRATCH_EN: 0
; COMPUTE_PGM_RSRC2:USER_SGPR: 2
; COMPUTE_PGM_RSRC2:TRAP_HANDLER: 0
; COMPUTE_PGM_RSRC2:TGID_X_EN: 1
; COMPUTE_PGM_RSRC2:TGID_Y_EN: 0
; COMPUTE_PGM_RSRC2:TGID_Z_EN: 0
; COMPUTE_PGM_RSRC2:TIDIG_COMP_CNT: 0
	.section	.text._ZN9rocsolver6v33100L12steqr_kernelIffPfEEviPT0_lS4_lT1_iilPiS4_iS3_S3_S3_,"axG",@progbits,_ZN9rocsolver6v33100L12steqr_kernelIffPfEEviPT0_lS4_lT1_iilPiS4_iS3_S3_S3_,comdat
	.globl	_ZN9rocsolver6v33100L12steqr_kernelIffPfEEviPT0_lS4_lT1_iilPiS4_iS3_S3_S3_ ; -- Begin function _ZN9rocsolver6v33100L12steqr_kernelIffPfEEviPT0_lS4_lT1_iilPiS4_iS3_S3_S3_
	.p2align	8
	.type	_ZN9rocsolver6v33100L12steqr_kernelIffPfEEviPT0_lS4_lT1_iilPiS4_iS3_S3_S3_,@function
_ZN9rocsolver6v33100L12steqr_kernelIffPfEEviPT0_lS4_lT1_iilPiS4_iS3_S3_S3_: ; @_ZN9rocsolver6v33100L12steqr_kernelIffPfEEviPT0_lS4_lT1_iilPiS4_iS3_S3_S3_
; %bb.0:
	s_clause 0x1
	s_load_b32 s2, s[0:1], 0x6c
	s_load_b32 s3, s[0:1], 0x60
	s_bfe_u32 s4, ttmp6, 0x4000c
	s_and_b32 s5, ttmp6, 15
	s_add_co_i32 s6, s4, 1
	s_getreg_b32 s4, hwreg(HW_REG_IB_STS2, 6, 4)
	s_mul_i32 s6, ttmp9, s6
	s_delay_alu instid0(SALU_CYCLE_1) | instskip(SKIP_4) | instid1(SALU_CYCLE_1)
	s_add_co_i32 s5, s5, s6
	s_wait_kmcnt 0x0
	s_and_b32 s7, s2, 0xffff
	s_cmp_eq_u32 s4, 0
	s_cselect_b32 s2, ttmp9, s5
	v_mad_u32 v0, s2, s7, v0
	s_delay_alu instid0(VALU_DEP_1)
	v_cmp_eq_u32_e64 s2, 0, v0
	s_and_saveexec_b32 s5, s2
; %bb.1:
	v_mov_b32_e32 v1, 0
	ds_store_2addr_b32 v1, v1, v1 offset0:3 offset1:7
; %bb.2:
	s_or_b32 exec_lo, exec_lo, s5
	v_mov_b32_e32 v48, 0
	s_load_b32 s6, s[0:1], 0x0
	s_wait_dscnt 0x0
	s_barrier_signal -1
	s_barrier_wait -1
	ds_load_2addr_b32 v[2:3], v48 offset0:3 offset1:7
	s_clause 0x1
	s_load_b128 s[24:27], s[0:1], 0x50
	s_load_b256 s[16:23], s[0:1], 0x8
	s_bfe_u32 s5, ttmp6, 0x40010
	s_bfe_u32 s28, ttmp6, 0x40004
	s_add_co_i32 s5, s5, 1
	s_load_b256 s[8:15], s[0:1], 0x28
	s_mul_i32 s5, ttmp7, s5
	s_mul_i32 s30, s3, s7
	s_add_co_i32 s28, s28, s5
	s_cmp_eq_u32 s4, 0
	s_load_b64 s[4:5], s[0:1], 0x48
	s_cselect_b32 s36, ttmp7, s28
	s_delay_alu instid0(SALU_CYCLE_1)
	s_ashr_i32 s37, s36, 31
	s_wait_kmcnt 0x0
	s_add_co_i32 s34, s6, -1
	s_wait_dscnt 0x0
	v_cmp_gt_i32_e32 vcc_lo, s6, v2
	v_cmp_gt_i32_e64 s0, s24, v3
	s_mul_u64 s[18:19], s[18:19], s[36:37]
	v_readfirstlane_b32 s68, v2
	s_lshl_b64 s[28:29], s[18:19], 2
	s_mul_u64 s[38:39], s[22:23], s[36:37]
	s_and_b32 s0, vcc_lo, s0
	s_add_nc_u64 s[18:19], s[16:17], s[28:29]
	s_ashr_i32 s23, s10, 31
	s_mov_b32 s22, s10
	s_mul_u64 s[12:13], s[12:13], s[36:37]
	s_and_not1_b32 vcc_lo, exec_lo, s0
	s_cbranch_vccnz .LBB6_229
; %bb.3:
	s_lshl_b32 s0, s6, 1
	s_ashr_i32 s7, s6, 31
	s_ashr_i32 s1, s0, 31
	s_lshl_b64 s[62:63], s[6:7], 2
	s_mul_u64 s[0:1], s[0:1], s[36:37]
	s_lshl_b64 s[58:59], s[12:13], 2
	s_lshl_b64 s[52:53], s[0:1], 2
	;; [unrolled: 1-line block ×3, first 2 shown]
	s_add_nc_u64 s[44:45], s[4:5], s[52:53]
	s_add_nc_u64 s[52:53], s[52:53], s[62:63]
	v_dual_ashrrev_i32 v1, 31, v0 :: v_dual_mov_b32 v7, 2.0
	s_add_nc_u64 s[4:5], s[4:5], s[52:53]
	v_mov_b64_e32 v[4:5], 0xbf0000003f000000
	s_add_nc_u64 s[54:55], s[4:5], -8
	s_add_nc_u64 s[4:5], s[58:59], s[60:61]
	s_lshl_b64 s[40:41], s[38:39], 2
	s_add_nc_u64 s[4:5], s[8:9], s[4:5]
	s_add_nc_u64 s[42:43], s[8:9], s[58:59]
	s_ashr_i32 s47, s11, 31
	s_mov_b32 s46, s11
	v_cmp_gt_i32_e64 s0, s6, v0
	v_lshl_add_u64 v[2:3], v[0:1], 2, s[4:5]
	s_add_nc_u64 s[40:41], s[20:21], s[40:41]
	s_add_nc_u64 s[42:43], s[42:43], s[60:61]
	s_mul_f32 s10, s25, s25
	s_add_nc_u64 s[48:49], s[16:17], s[28:29]
	s_ashr_i32 s31, s30, 31
	s_add_nc_u64 s[60:61], s[62:63], -4
	s_lshl_b64 s[62:63], s[46:47], 2
	s_add_nc_u64 s[50:51], s[48:49], 4
	s_lshl_b64 s[52:53], s[30:31], 2
	s_add_nc_u64 s[56:57], s[44:45], -4
	s_add_nc_u64 s[58:59], s[40:41], -4
	s_sub_nc_u64 s[64:65], 0, s[62:63]
	s_add_nc_u64 s[66:67], s[48:49], -4
	s_mov_b32 s5, 0
                                        ; implicit-def: $vgpr50
                                        ; implicit-def: $vgpr16_vgpr17
                                        ; implicit-def: $vgpr18_vgpr19
                                        ; implicit-def: $vgpr20_vgpr21
                                        ; implicit-def: $vgpr8_vgpr9
                                        ; implicit-def: $vgpr49
                                        ; implicit-def: $vgpr14_vgpr15
                                        ; implicit-def: $vgpr1
                                        ; implicit-def: $vgpr10_vgpr11
                                        ; implicit-def: $vgpr12_vgpr13
	s_branch .LBB6_7
.LBB6_4:                                ;   in Loop: Header=BB6_7 Depth=1
	s_or_b32 exec_lo, exec_lo, s1
.LBB6_5:                                ;   in Loop: Header=BB6_7 Depth=1
	s_wait_storecnt 0x0
	s_barrier_signal -1
	s_barrier_wait -1
.LBB6_6:                                ;   in Loop: Header=BB6_7 Depth=1
	ds_load_2addr_b32 v[22:23], v48 offset0:3 offset1:7
	s_wait_dscnt 0x0
	v_cmp_gt_i32_e32 vcc_lo, s6, v22
	v_cmp_gt_i32_e64 s1, s24, v23
	v_readfirstlane_b32 s68, v22
	s_and_b32 s1, vcc_lo, s1
	s_delay_alu instid0(SALU_CYCLE_1)
	s_and_not1_b32 vcc_lo, exec_lo, s1
	s_cbranch_vccnz .LBB6_229
.LBB6_7:                                ; =>This Loop Header: Depth=1
                                        ;     Child Loop BB6_15 Depth 2
                                        ;     Child Loop BB6_29 Depth 2
	;; [unrolled: 1-line block ×6, first 2 shown]
                                        ;       Child Loop BB6_159 Depth 3
                                        ;       Child Loop BB6_179 Depth 3
	;; [unrolled: 1-line block ×3, first 2 shown]
                                        ;         Child Loop BB6_227 Depth 4
                                        ;     Child Loop BB6_74 Depth 2
                                        ;       Child Loop BB6_81 Depth 3
                                        ;       Child Loop BB6_101 Depth 3
	;; [unrolled: 1-line block ×3, first 2 shown]
                                        ;         Child Loop BB6_149 Depth 4
                                        ;     Child Loop BB6_64 Depth 2
                                        ;     Child Loop BB6_71 Depth 2
	s_and_saveexec_b32 s3, s2
	s_cbranch_execz .LBB6_37
; %bb.8:                                ;   in Loop: Header=BB6_7 Depth=1
	s_cmp_lt_i32 s68, 1
	s_cbranch_scc1 .LBB6_10
; %bb.9:                                ;   in Loop: Header=BB6_7 Depth=1
	v_mov_b32_e32 v6, s68
	global_store_b32 v6, v48, s[40:41] offset:-4 scale_offset
.LBB6_10:                               ;   in Loop: Header=BB6_7 Depth=1
	s_mov_b32 s31, -1
	s_mov_b32 s4, 0
	s_cmp_lt_i32 s68, s34
	s_mov_b32 s1, 0
	s_cbranch_scc1 .LBB6_12
; %bb.11:                               ;   in Loop: Header=BB6_7 Depth=1
	s_ashr_i32 s69, s68, 31
	s_mov_b32 s31, 0
	s_mov_b32 s1, -1
.LBB6_12:                               ;   in Loop: Header=BB6_7 Depth=1
	s_and_not1_b32 vcc_lo, exec_lo, s31
	s_cbranch_vccnz .LBB6_17
; %bb.13:                               ;   in Loop: Header=BB6_7 Depth=1
	s_ashr_i32 s69, s68, 31
	s_delay_alu instid0(SALU_CYCLE_1)
	s_lshl_b64 s[70:71], s[68:69], 2
	s_mov_b64 s[74:75], s[68:69]
	s_add_nc_u64 s[78:79], s[40:41], s[70:71]
	s_add_nc_u64 s[72:73], s[50:51], s[70:71]
	s_branch .LBB6_15
.LBB6_14:                               ;   in Loop: Header=BB6_15 Depth=2
	s_and_not1_b32 vcc_lo, exec_lo, s31
	s_cbranch_vccz .LBB6_18
.LBB6_15:                               ;   Parent Loop BB6_7 Depth=1
                                        ; =>  This Inner Loop Header: Depth=2
	s_clause 0x1
	global_load_b64 v[16:17], v48, s[72:73] offset:-4
	global_load_b32 v6, v48, s[78:79]
	s_mov_b64 s[70:71], s[78:79]
	s_wait_loadcnt 0x1
	v_readfirstlane_b32 s4, v17
	s_wait_loadcnt 0x0
	v_and_b32_e32 v6, 0x7fffffff, v6
	s_bitset0_b32 s4, 31
	s_delay_alu instid0(SALU_CYCLE_1) | instskip(SKIP_1) | instid1(SALU_CYCLE_2)
	s_mul_f32 s31, s4, 0x4f800000
	s_cmp_lt_f32 s4, 0xf800000
	s_cselect_b32 s31, s31, s4
	s_delay_alu instid0(SALU_CYCLE_1) | instskip(SKIP_1) | instid1(TRANS32_DEP_1)
	v_s_sqrt_f32 s33, s31
	s_mov_b32 s76, s31
	s_add_co_i32 s35, s33, -1
	s_delay_alu instid0(SALU_CYCLE_1) | instskip(NEXT) | instid1(SALU_CYCLE_1)
	s_xor_b32 s77, s35, 0x80000000
	s_fmac_f32 s76, s77, s33
	s_mov_b32 s77, s31
	s_delay_alu instid0(SALU_CYCLE_2) | instskip(SKIP_4) | instid1(SALU_CYCLE_1)
	s_cmp_le_f32 s76, 0
	s_cselect_b32 s35, s35, s33
	s_add_co_i32 s76, s33, 1
	s_wait_xcnt 0x0
	s_xor_b32 s78, s76, 0x80000000
	s_fmac_f32 s77, s78, s33
	v_readfirstlane_b32 s33, v16
	s_delay_alu instid0(SALU_CYCLE_2) | instskip(SKIP_3) | instid1(SALU_CYCLE_3)
	s_cmp_gt_f32 s77, 0
	s_cselect_b32 s35, s76, s35
	s_cmp_lt_f32 s4, 0xf800000
	s_mul_f32 s4, s35, 0x37800000
	s_cselect_b32 s4, s4, s35
	s_bitset0_b32 s33, 31
	s_delay_alu instid0(SALU_CYCLE_1) | instskip(SKIP_1) | instid1(SALU_CYCLE_2)
	s_mul_f32 s35, s33, 0x4f800000
	s_cmp_lt_f32 s33, 0xf800000
	s_cselect_b32 s35, s35, s33
	s_delay_alu instid0(SALU_CYCLE_1) | instskip(SKIP_1) | instid1(TRANS32_DEP_1)
	v_s_sqrt_f32 s76, s35
	s_mov_b32 s78, s35
	s_add_co_i32 s77, s76, -1
	s_delay_alu instid0(SALU_CYCLE_1) | instskip(NEXT) | instid1(SALU_CYCLE_1)
	s_xor_b32 s79, s77, 0x80000000
	s_fmac_f32 s78, s79, s76
	s_mov_b32 s79, s35
	s_delay_alu instid0(SALU_CYCLE_2) | instskip(SKIP_2) | instid1(SALU_CYCLE_1)
	s_cmp_le_f32 s78, 0
	s_cselect_b32 s77, s77, s76
	s_add_co_i32 s78, s76, 1
	s_xor_b32 s80, s78, 0x80000000
	s_delay_alu instid0(SALU_CYCLE_1) | instskip(SKIP_1) | instid1(SALU_CYCLE_2)
	s_fmac_f32 s79, s80, s76
	v_cmp_class_f32_e64 s76, s35, 0x260
	s_cmp_gt_f32 s79, 0
	s_cselect_b32 s77, s78, s77
	s_cmp_lt_f32 s33, 0xf800000
	s_mul_f32 s33, s77, 0x37800000
	v_cmp_class_f32_e64 s78, s31, 0x260
	s_delay_alu instid0(SALU_CYCLE_2)
	s_cselect_b32 s33, s33, s77
	s_and_b32 s76, s76, exec_lo
	s_cselect_b32 s33, s35, s33
	s_and_b32 s35, s78, exec_lo
	s_cselect_b32 s4, s31, s4
	s_mov_b64 s[76:77], s[74:75]
	s_mul_f32 s4, s33, s4
	s_mov_b32 s31, -1
                                        ; implicit-def: $sgpr74_sgpr75
                                        ; implicit-def: $sgpr78_sgpr79
	s_delay_alu instid0(SALU_CYCLE_2) | instskip(NEXT) | instid1(SALU_CYCLE_3)
	s_mul_f32 s4, s25, s4
	v_cmp_nge_f32_e32 vcc_lo, s4, v6
	s_mov_b32 s4, -1
	s_cbranch_vccz .LBB6_14
; %bb.16:                               ;   in Loop: Header=BB6_15 Depth=2
	s_add_nc_u64 s[74:75], s[76:77], 1
	s_add_nc_u64 s[78:79], s[70:71], 4
	s_cmp_ge_i32 s74, s34
	s_add_nc_u64 s[72:73], s[72:73], 4
	s_mov_b32 s4, 0
	s_cselect_b32 s31, -1, 0
	s_branch .LBB6_14
.LBB6_17:                               ;   in Loop: Header=BB6_7 Depth=1
	s_mov_b32 s31, s68
	s_mov_b64 s[72:73], s[68:69]
	s_and_b32 vcc_lo, exec_lo, s1
	s_cbranch_vccnz .LBB6_21
	s_branch .LBB6_22
.LBB6_18:                               ;   in Loop: Header=BB6_7 Depth=1
	s_xor_b32 s4, s4, -1
                                        ; implicit-def: $sgpr72_sgpr73
	s_delay_alu instid0(SALU_CYCLE_1)
	s_and_b32 vcc_lo, exec_lo, s4
	s_mov_b32 s4, -1
	s_cbranch_vccz .LBB6_20
; %bb.19:                               ;   in Loop: Header=BB6_7 Depth=1
	s_ashr_i32 s35, s34, 31
	s_mov_b32 s1, -1
	s_mov_b32 s4, 0
	s_mov_b64 s[72:73], s[34:35]
.LBB6_20:                               ;   in Loop: Header=BB6_7 Depth=1
	v_mov_b64_e32 v[16:17], s[76:77]
	v_mov_b64_e32 v[18:19], s[70:71]
	;; [unrolled: 1-line block ×3, first 2 shown]
	v_mov_b32_e32 v50, s76
	s_mov_b32 s31, s34
	s_and_b32 vcc_lo, exec_lo, s1
	s_cbranch_vccz .LBB6_22
.LBB6_21:                               ;   in Loop: Header=BB6_7 Depth=1
	s_wait_xcnt 0x0
	v_mov_b32_e32 v6, s31
	ds_store_b32 v48, v6 offset:4
.LBB6_22:                               ;   in Loop: Header=BB6_7 Depth=1
	v_mov_b64_e32 v[22:23], s[68:69]
	v_mov_b64_e32 v[24:25], s[72:73]
	s_wait_xcnt 0x0
	v_mov_b32_e32 v6, s31
	s_and_not1_b32 vcc_lo, exec_lo, s4
	s_cbranch_vccnz .LBB6_24
; %bb.23:                               ;   in Loop: Header=BB6_7 Depth=1
	v_mov_b64_e32 v[22:23], v[20:21]
	v_mov_b64_e32 v[24:25], v[16:17]
	v_mov_b32_e32 v6, v50
	ds_store_b32 v48, v50 offset:4
	global_store_b32 v[18:19], v48, off
.LBB6_24:                               ;   in Loop: Header=BB6_7 Depth=1
	s_delay_alu instid0(VALU_DEP_2)
	v_lshl_add_u64 v[24:25], v[24:25], 2, s[18:19]
	v_lshl_add_u64 v[26:27], v[22:23], 2, s[18:19]
	s_mov_b32 s1, exec_lo
	s_clause 0x1
	global_load_b32 v22, v[24:25], off
	global_load_b32 v23, v[26:27], off
	s_wait_xcnt 0x1
	v_dual_mov_b32 v24, s68 :: v_dual_add_nc_u32 v25, 1, v6
	s_wait_xcnt 0x0
	v_mov_b32_e32 v26, s68
	ds_store_2addr_b32 v48, v24, v6 offset1:5
	ds_store_b32 v48, v6 offset:32
	ds_store_2addr_b32 v48, v25, v26 offset0:3 offset1:4
	s_wait_loadcnt 0x0
	v_cmpx_lt_f32_e64 |v22|, |v23|
; %bb.25:                               ;   in Loop: Header=BB6_7 Depth=1
	v_mov_b32_e32 v23, s68
	ds_store_2addr_b32 v48, v6, v23 offset1:5
; %bb.26:                               ;   in Loop: Header=BB6_7 Depth=1
	s_or_b32 exec_lo, exec_lo, s1
	v_and_b32_e32 v28, 0x7fffffff, v22
	s_mov_b32 s4, exec_lo
	v_cmpx_lt_i32_e64 s68, v6
	s_cbranch_execz .LBB6_36
; %bb.27:                               ;   in Loop: Header=BB6_7 Depth=1
	v_subrev_nc_u32_e32 v23, s68, v6
	v_mov_b32_e32 v22, s68
	s_mov_b32 s33, -1
	s_mov_b32 s31, exec_lo
	s_delay_alu instid0(VALU_DEP_2)
	v_cmpx_lt_u32_e32 1, v23
	s_cbranch_execz .LBB6_31
; %bb.28:                               ;   in Loop: Header=BB6_7 Depth=1
	v_dual_mov_b32 v27, v28 :: v_dual_bitop2_b32 v22, -2, v23 bitop3:0x40
	s_mov_b32 s35, 0
	s_mov_b32 s1, 0
                                        ; implicit-def: $sgpr33
	s_delay_alu instid0(VALU_DEP_1)
	v_add_nc_u32_e32 v24, -2, v22
.LBB6_29:                               ;   Parent Loop BB6_7 Depth=1
                                        ; =>  This Inner Loop Header: Depth=2
	s_add_co_i32 s70, s68, s1
	v_dual_mov_b32 v26, v27 :: v_dual_mov_b32 v25, v28
	s_ashr_i32 s71, s70, 31
	s_add_co_i32 s69, s1, 2
	s_lshl_b64 s[70:71], s[70:71], 2
	v_cmp_eq_u32_e32 vcc_lo, s1, v24
	s_add_nc_u64 s[72:73], s[40:41], s[70:71]
	s_add_nc_u64 s[70:71], s[18:19], s[70:71]
	s_clause 0x1
	global_load_b64 v[30:31], v48, s[72:73]
	global_load_b64 v[32:33], v48, s[70:71]
	v_dual_mov_b32 v29, s1 :: v_dual_max_num_f32 v27, v26, v26
	s_wait_loadcnt 0x1
	v_max_num_f32_e64 v31, |v31|, |v31|
	s_wait_loadcnt 0x0
	v_max_num_f32_e64 v33, |v33|, |v33|
	v_max_num_f32_e64 v30, |v30|, |v30|
	;; [unrolled: 1-line block ×3, first 2 shown]
	s_delay_alu instid0(VALU_DEP_1) | instskip(NEXT) | instid1(VALU_DEP_1)
	v_dual_max_num_f32 v28, v25, v25 :: v_dual_max_num_f32 v30, v32, v30
	v_dual_max_num_f32 v31, v33, v31 :: v_dual_max_num_f32 v28, v28, v30
	s_delay_alu instid0(VALU_DEP_1) | instskip(SKIP_1) | instid1(VALU_DEP_2)
	v_cmp_u_f32_e64 s1, v31, v31
	v_max_num_f32_e32 v27, v27, v31
	v_cndmask_b32_e64 v32, 0, 1, s1
	v_cmp_u_f32_e64 s1, v30, v30
	s_delay_alu instid0(VALU_DEP_1) | instskip(NEXT) | instid1(VALU_DEP_3)
	v_cndmask_b32_e64 v33, 0, 1, s1
	v_readfirstlane_b32 s1, v32
	s_wait_xcnt 0x0
	s_delay_alu instid0(VALU_DEP_2) | instskip(SKIP_1) | instid1(SALU_CYCLE_1)
	v_readfirstlane_b32 s70, v33
	s_lshl_b32 s1, s1, 1
	s_or_b32 s1, s70, s1
	s_delay_alu instid0(SALU_CYCLE_1) | instskip(NEXT) | instid1(SALU_CYCLE_1)
	s_and_b32 s1, s1, 3
	s_cmp_lg_u32 s1, 0
	s_cselect_b32 s1, -1, 0
	s_delay_alu instid0(SALU_CYCLE_1) | instskip(NEXT) | instid1(SALU_CYCLE_1)
	s_or_b32 s70, s1, vcc_lo
	s_and_b32 s70, exec_lo, s70
	s_delay_alu instid0(SALU_CYCLE_1)
	s_or_b32 s35, s70, s35
	s_and_not1_b32 s33, s33, exec_lo
	s_and_b32 s70, s1, exec_lo
	s_mov_b32 s1, s69
	s_or_b32 s33, s33, s70
	s_and_not1_b32 exec_lo, exec_lo, s35
	s_cbranch_execnz .LBB6_29
; %bb.30:                               ;   in Loop: Header=BB6_7 Depth=1
	s_or_b32 exec_lo, exec_lo, s35
	v_dual_cndmask_b32 v24, v27, v26, s33 :: v_dual_cndmask_b32 v25, v28, v25, s33
	v_cmp_ne_u32_e32 vcc_lo, v23, v22
	s_delay_alu instid0(VALU_DEP_2) | instskip(SKIP_2) | instid1(SALU_CYCLE_1)
	v_dual_max_num_f32 v24, v24, v24 :: v_dual_max_num_f32 v25, v25, v25
	v_cndmask_b32_e64 v26, v22, v29, s33
	s_or_b32 s1, vcc_lo, s33
	s_or_not1_b32 s33, s1, exec_lo
	s_delay_alu instid0(VALU_DEP_1)
	v_dual_max_num_f32 v28, v25, v24 :: v_dual_add_nc_u32 v22, s68, v26
.LBB6_31:                               ;   in Loop: Header=BB6_7 Depth=1
	s_or_b32 exec_lo, exec_lo, s31
	s_and_saveexec_b32 s1, s33
	s_cbranch_execz .LBB6_35
; %bb.32:                               ;   in Loop: Header=BB6_7 Depth=1
	s_delay_alu instid0(VALU_DEP_1) | instskip(SKIP_1) | instid1(VALU_DEP_1)
	v_ashrrev_i32_e32 v23, 31, v22
	s_mov_b32 s31, 0
	v_lshlrev_b64_e32 v[26:27], 2, v[22:23]
	s_delay_alu instid0(VALU_DEP_1)
	v_add_nc_u64_e32 v[24:25], s[48:49], v[26:27]
	v_add_nc_u64_e32 v[26:27], s[40:41], v[26:27]
.LBB6_33:                               ;   Parent Loop BB6_7 Depth=1
                                        ; =>  This Inner Loop Header: Depth=2
	global_load_b32 v23, v[24:25], off
	global_load_b32 v29, v[26:27], off
	v_add_nc_u32_e32 v22, 1, v22
	s_wait_xcnt 0x1
	v_add_nc_u64_e32 v[24:25], 4, v[24:25]
	s_wait_xcnt 0x0
	v_add_nc_u64_e32 v[26:27], 4, v[26:27]
	v_cmp_ge_i32_e32 vcc_lo, v22, v6
	s_or_b32 s31, vcc_lo, s31
	s_wait_loadcnt 0x0
	v_max3_num_f32 v28, v28, |v23|, |v29|
	s_and_not1_b32 exec_lo, exec_lo, s31
	s_cbranch_execnz .LBB6_33
; %bb.34:                               ;   in Loop: Header=BB6_7 Depth=1
	s_or_b32 exec_lo, exec_lo, s31
.LBB6_35:                               ;   in Loop: Header=BB6_7 Depth=1
	s_delay_alu instid0(SALU_CYCLE_1)
	s_or_b32 exec_lo, exec_lo, s1
.LBB6_36:                               ;   in Loop: Header=BB6_7 Depth=1
	s_delay_alu instid0(SALU_CYCLE_1)
	s_or_b32 exec_lo, exec_lo, s4
	ds_store_b32 v48, v28 offset:24
.LBB6_37:                               ;   in Loop: Header=BB6_7 Depth=1
	s_or_b32 exec_lo, exec_lo, s3
	s_wait_storecnt_dscnt 0x0
	s_barrier_signal -1
	s_barrier_wait -1
	ds_load_2addr_b32 v[22:23], v48 offset0:5 offset1:6
	ds_load_b32 v6, v48
	s_wait_dscnt 0x1
	v_readfirstlane_b32 s1, v23
	v_readfirstlane_b32 s3, v22
	s_cmp_eq_f32 s1, 0
	s_wait_dscnt 0x0
	v_cmp_eq_u32_e32 vcc_lo, s3, v6
	s_cselect_b32 s3, -1, 0
	s_delay_alu instid0(SALU_CYCLE_1) | instskip(NEXT) | instid1(SALU_CYCLE_1)
	s_or_b32 s3, vcc_lo, s3
	s_and_b32 vcc_lo, exec_lo, s3
	s_cbranch_vccnz .LBB6_6
; %bb.38:                               ;   in Loop: Header=BB6_7 Depth=1
	s_cmp_ngt_f32 s1, s27
	s_mov_b32 s3, -1
	s_cbranch_scc0 .LBB6_47
; %bb.39:                               ;   in Loop: Header=BB6_7 Depth=1
	s_cmp_nlt_f32 s1, s26
	s_cbranch_scc1 .LBB6_46
; %bb.40:                               ;   in Loop: Header=BB6_7 Depth=1
	v_div_scale_f32 v6, null, s26, s26, s1
	v_div_scale_f32 v25, vcc_lo, s1, s26, s1
	s_delay_alu instid0(VALU_DEP_2)
	v_rcp_f32_e32 v24, v6
	v_nop
	v_xor_b32_e32 v6, 0x80000000, v6
	s_delay_alu instid0(TRANS32_DEP_1) | instid1(VALU_DEP_1)
	v_fma_f32 v22, v6, v24, 1.0
	s_delay_alu instid0(VALU_DEP_1) | instskip(SKIP_2) | instid1(VALU_DEP_1)
	v_fmac_f32_e32 v24, v22, v24
	ds_load_2addr_b32 v[22:23], v48 offset0:4 offset1:8
	v_mul_f32_e32 v26, v25, v24
	v_fma_f32 v27, v6, v26, v25
	s_delay_alu instid0(VALU_DEP_1) | instskip(NEXT) | instid1(VALU_DEP_1)
	v_fmac_f32_e32 v26, v27, v24
	v_fmac_f32_e32 v25, v6, v26
	s_delay_alu instid0(VALU_DEP_1) | instskip(NEXT) | instid1(VALU_DEP_1)
	v_div_fmas_f32 v6, v25, v24, v26
	v_div_fixup_f32 v6, v6, s26, s1
	s_and_saveexec_b32 s3, s2
	s_cbranch_execz .LBB6_42
; %bb.41:                               ;   in Loop: Header=BB6_7 Depth=1
	s_wait_dscnt 0x0
	global_load_b32 v24, v23, s[18:19] scale_offset
	s_wait_loadcnt 0x0
	v_mul_f32_e32 v24, v6, v24
	global_store_b32 v23, v24, s[18:19] scale_offset
.LBB6_42:                               ;   in Loop: Header=BB6_7 Depth=1
	s_wait_xcnt 0x0
	s_or_b32 exec_lo, exec_lo, s3
	s_wait_dscnt 0x0
	v_add_nc_u32_e32 v24, v22, v0
	s_mov_b32 s3, exec_lo
	s_delay_alu instid0(VALU_DEP_1)
	v_cmpx_lt_i32_e64 v24, v23
	s_cbranch_execz .LBB6_45
; %bb.43:                               ;   in Loop: Header=BB6_7 Depth=1
	v_ashrrev_i32_e32 v25, 31, v24
	s_mov_b32 s4, 0
	s_delay_alu instid0(VALU_DEP_1)
	v_lshlrev_b64_e32 v[26:27], 2, v[24:25]
.LBB6_44:                               ;   Parent Loop BB6_7 Depth=1
                                        ; =>  This Inner Loop Header: Depth=2
	s_delay_alu instid0(VALU_DEP_1)
	v_add_nc_u64_e32 v[28:29], s[18:19], v[26:27]
	v_add_nc_u64_e32 v[30:31], s[40:41], v[26:27]
	;; [unrolled: 1-line block ×3, first 2 shown]
	v_add_nc_u32_e32 v24, s30, v24
	global_load_b32 v22, v[28:29], off
	v_cmp_ge_i32_e32 vcc_lo, v24, v23
	s_or_b32 s4, vcc_lo, s4
	s_wait_loadcnt 0x0
	v_mul_f32_e32 v22, v6, v22
	global_store_b32 v[28:29], v22, off
	global_load_b32 v22, v[30:31], off
	s_wait_loadcnt 0x0
	v_mul_f32_e32 v22, v6, v22
	global_store_b32 v[30:31], v22, off
	s_wait_xcnt 0x0
	s_and_not1_b32 exec_lo, exec_lo, s4
	s_cbranch_execnz .LBB6_44
.LBB6_45:                               ;   in Loop: Header=BB6_7 Depth=1
	s_or_b32 exec_lo, exec_lo, s3
.LBB6_46:                               ;   in Loop: Header=BB6_7 Depth=1
	s_mov_b32 s3, 0
.LBB6_47:                               ;   in Loop: Header=BB6_7 Depth=1
	s_delay_alu instid0(SALU_CYCLE_1)
	s_and_not1_b32 vcc_lo, exec_lo, s3
	s_cbranch_vccnz .LBB6_54
; %bb.48:                               ;   in Loop: Header=BB6_7 Depth=1
	v_div_scale_f32 v6, null, s27, s27, s1
	v_div_scale_f32 v25, vcc_lo, s1, s27, s1
	s_delay_alu instid0(VALU_DEP_2)
	v_rcp_f32_e32 v24, v6
	v_nop
	v_xor_b32_e32 v6, 0x80000000, v6
	s_delay_alu instid0(TRANS32_DEP_1) | instid1(VALU_DEP_1)
	v_fma_f32 v22, v6, v24, 1.0
	s_delay_alu instid0(VALU_DEP_1) | instskip(SKIP_2) | instid1(VALU_DEP_1)
	v_fmac_f32_e32 v24, v22, v24
	ds_load_2addr_b32 v[22:23], v48 offset0:4 offset1:8
	v_mul_f32_e32 v26, v25, v24
	v_fma_f32 v27, v6, v26, v25
	s_delay_alu instid0(VALU_DEP_1) | instskip(NEXT) | instid1(VALU_DEP_1)
	v_fmac_f32_e32 v26, v27, v24
	v_fmac_f32_e32 v25, v6, v26
	s_delay_alu instid0(VALU_DEP_1) | instskip(NEXT) | instid1(VALU_DEP_1)
	v_div_fmas_f32 v6, v25, v24, v26
	v_div_fixup_f32 v6, v6, s27, s1
	s_and_saveexec_b32 s1, s2
	s_cbranch_execz .LBB6_50
; %bb.49:                               ;   in Loop: Header=BB6_7 Depth=1
	s_wait_dscnt 0x0
	global_load_b32 v24, v23, s[18:19] scale_offset
	s_wait_loadcnt 0x0
	v_mul_f32_e32 v24, v6, v24
	global_store_b32 v23, v24, s[18:19] scale_offset
.LBB6_50:                               ;   in Loop: Header=BB6_7 Depth=1
	s_wait_xcnt 0x0
	s_or_b32 exec_lo, exec_lo, s1
	s_wait_dscnt 0x0
	v_add_nc_u32_e32 v24, v22, v0
	s_mov_b32 s1, exec_lo
	s_delay_alu instid0(VALU_DEP_1)
	v_cmpx_lt_i32_e64 v24, v23
	s_cbranch_execz .LBB6_53
; %bb.51:                               ;   in Loop: Header=BB6_7 Depth=1
	v_ashrrev_i32_e32 v25, 31, v24
	s_mov_b32 s3, 0
	s_delay_alu instid0(VALU_DEP_1)
	v_lshlrev_b64_e32 v[26:27], 2, v[24:25]
.LBB6_52:                               ;   Parent Loop BB6_7 Depth=1
                                        ; =>  This Inner Loop Header: Depth=2
	s_delay_alu instid0(VALU_DEP_1)
	v_add_nc_u64_e32 v[28:29], s[18:19], v[26:27]
	v_add_nc_u64_e32 v[30:31], s[40:41], v[26:27]
	;; [unrolled: 1-line block ×3, first 2 shown]
	v_add_nc_u32_e32 v24, s30, v24
	global_load_b32 v22, v[28:29], off
	v_cmp_ge_i32_e32 vcc_lo, v24, v23
	s_or_b32 s3, vcc_lo, s3
	s_wait_loadcnt 0x0
	v_mul_f32_e32 v22, v6, v22
	global_store_b32 v[28:29], v22, off
	global_load_b32 v22, v[30:31], off
	s_wait_loadcnt 0x0
	v_mul_f32_e32 v22, v6, v22
	global_store_b32 v[30:31], v22, off
	s_wait_xcnt 0x0
	s_and_not1_b32 exec_lo, exec_lo, s3
	s_cbranch_execnz .LBB6_52
.LBB6_53:                               ;   in Loop: Header=BB6_7 Depth=1
	s_or_b32 exec_lo, exec_lo, s1
.LBB6_54:                               ;   in Loop: Header=BB6_7 Depth=1
	s_wait_storecnt 0x0
	s_barrier_signal -1
	s_barrier_wait -1
	ds_load_b32 v25, v48 offset:28
	ds_load_2addr_b32 v[22:23], v48 offset1:5
	s_mov_b32 s4, -1
                                        ; implicit-def: $vgpr28_vgpr29
                                        ; implicit-def: $vgpr26_vgpr27
	s_wait_dscnt 0x1
	v_cmp_gt_i32_e64 s1, s24, v25
	s_wait_dscnt 0x0
	v_cmp_lt_i32_e32 vcc_lo, v23, v22
	v_mov_b32_e32 v24, v23
                                        ; implicit-def: $vgpr23
	s_delay_alu instid0(VALU_DEP_3) | instskip(NEXT) | instid1(VALU_DEP_1)
	v_cndmask_b32_e64 v6, 0, 1, s1
	v_cmp_ne_u32_e64 s3, 1, v6
	s_cbranch_vccnz .LBB6_57
; %bb.55:                               ;   in Loop: Header=BB6_7 Depth=1
	v_mov_b64_e32 v[28:29], v[12:13]
	v_mov_b64_e32 v[26:27], v[10:11]
	v_dual_mov_b32 v23, v1 :: v_dual_mov_b32 v39, v25
	v_dual_mov_b32 v38, v24 :: v_dual_mov_b32 v30, v22
	s_and_b32 vcc_lo, exec_lo, s3
	s_cbranch_vccz .LBB6_153
.LBB6_56:                               ;   in Loop: Header=BB6_7 Depth=1
	s_mov_b32 s4, 0
.LBB6_57:                               ;   in Loop: Header=BB6_7 Depth=1
	s_delay_alu instid0(SALU_CYCLE_1)
	s_and_not1_b32 vcc_lo, exec_lo, s4
	s_cbranch_vccz .LBB6_74
; %bb.58:                               ;   in Loop: Header=BB6_7 Depth=1
	v_mov_b64_e32 v[10:11], v[26:27]
	v_mov_b64_e32 v[12:13], v[28:29]
	v_mov_b32_e32 v1, v23
.LBB6_59:                               ;   in Loop: Header=BB6_7 Depth=1
	s_barrier_signal -1
	s_barrier_wait -1
	ds_load_b32 v6, v48 offset:24
	s_wait_dscnt 0x0
	v_cmp_nlt_f32_e32 vcc_lo, s27, v6
	s_cbranch_vccnz .LBB6_66
; %bb.60:                               ;   in Loop: Header=BB6_7 Depth=1
	v_div_scale_f32 v22, null, v6, v6, s27
	v_div_scale_f32 v26, vcc_lo, s27, v6, s27
	s_delay_alu instid0(VALU_DEP_2)
	v_rcp_f32_e32 v24, v22
	v_xor_b32_e32 v25, 0x80000000, v22
	s_delay_alu instid0(TRANS32_DEP_1) | instid1(VALU_DEP_1)
	v_fma_f32 v22, v25, v24, 1.0
	s_delay_alu instid0(VALU_DEP_1) | instskip(SKIP_2) | instid1(VALU_DEP_1)
	v_fmac_f32_e32 v24, v22, v24
	ds_load_2addr_b32 v[22:23], v48 offset0:4 offset1:8
	v_mul_f32_e32 v27, v26, v24
	v_fma_f32 v28, v25, v27, v26
	s_delay_alu instid0(VALU_DEP_1) | instskip(NEXT) | instid1(VALU_DEP_1)
	v_fmac_f32_e32 v27, v28, v24
	v_fmac_f32_e32 v26, v25, v27
	s_delay_alu instid0(VALU_DEP_1) | instskip(NEXT) | instid1(VALU_DEP_1)
	v_div_fmas_f32 v24, v26, v24, v27
	v_div_fixup_f32 v28, v24, v6, s27
	s_and_saveexec_b32 s1, s2
	s_cbranch_execz .LBB6_62
; %bb.61:                               ;   in Loop: Header=BB6_7 Depth=1
	s_wait_dscnt 0x0
	global_load_b32 v24, v23, s[18:19] scale_offset
	s_wait_loadcnt 0x0
	v_mul_f32_e32 v24, v28, v24
	global_store_b32 v23, v24, s[18:19] scale_offset
.LBB6_62:                               ;   in Loop: Header=BB6_7 Depth=1
	s_wait_xcnt 0x0
	s_or_b32 exec_lo, exec_lo, s1
	s_wait_dscnt 0x0
	v_add_nc_u32_e32 v24, v22, v0
	s_mov_b32 s1, exec_lo
	s_delay_alu instid0(VALU_DEP_1)
	v_cmpx_lt_i32_e64 v24, v23
	s_cbranch_execz .LBB6_65
; %bb.63:                               ;   in Loop: Header=BB6_7 Depth=1
	v_ashrrev_i32_e32 v25, 31, v24
	s_mov_b32 s3, 0
	s_delay_alu instid0(VALU_DEP_1)
	v_lshlrev_b64_e32 v[26:27], 2, v[24:25]
.LBB6_64:                               ;   Parent Loop BB6_7 Depth=1
                                        ; =>  This Inner Loop Header: Depth=2
	s_delay_alu instid0(VALU_DEP_1)
	v_add_nc_u64_e32 v[30:31], s[18:19], v[26:27]
	v_add_nc_u64_e32 v[32:33], s[40:41], v[26:27]
	;; [unrolled: 1-line block ×3, first 2 shown]
	v_add_nc_u32_e32 v24, s30, v24
	global_load_b32 v22, v[30:31], off
	v_cmp_ge_i32_e32 vcc_lo, v24, v23
	s_or_b32 s3, vcc_lo, s3
	s_wait_loadcnt 0x0
	v_mul_f32_e32 v22, v28, v22
	global_store_b32 v[30:31], v22, off
	global_load_b32 v22, v[32:33], off
	s_wait_loadcnt 0x0
	v_mul_f32_e32 v22, v28, v22
	global_store_b32 v[32:33], v22, off
	s_wait_xcnt 0x0
	s_and_not1_b32 exec_lo, exec_lo, s3
	s_cbranch_execnz .LBB6_64
.LBB6_65:                               ;   in Loop: Header=BB6_7 Depth=1
	s_or_b32 exec_lo, exec_lo, s1
.LBB6_66:                               ;   in Loop: Header=BB6_7 Depth=1
	v_cmp_ngt_f32_e32 vcc_lo, s26, v6
	s_cbranch_vccnz .LBB6_5
; %bb.67:                               ;   in Loop: Header=BB6_7 Depth=1
	v_div_scale_f32 v22, null, v6, v6, s26
	v_div_scale_f32 v26, vcc_lo, s26, v6, s26
	s_delay_alu instid0(VALU_DEP_2)
	v_rcp_f32_e32 v24, v22
	v_xor_b32_e32 v25, 0x80000000, v22
	s_delay_alu instid0(TRANS32_DEP_1) | instid1(VALU_DEP_1)
	v_fma_f32 v22, v25, v24, 1.0
	s_delay_alu instid0(VALU_DEP_1) | instskip(SKIP_2) | instid1(VALU_DEP_1)
	v_fmac_f32_e32 v24, v22, v24
	ds_load_2addr_b32 v[22:23], v48 offset0:4 offset1:8
	v_mul_f32_e32 v27, v26, v24
	v_fma_f32 v28, v25, v27, v26
	s_delay_alu instid0(VALU_DEP_1) | instskip(NEXT) | instid1(VALU_DEP_1)
	v_fmac_f32_e32 v27, v28, v24
	v_fmac_f32_e32 v26, v25, v27
	s_delay_alu instid0(VALU_DEP_1) | instskip(NEXT) | instid1(VALU_DEP_1)
	v_div_fmas_f32 v24, v26, v24, v27
	v_div_fixup_f32 v6, v24, v6, s26
	s_and_saveexec_b32 s1, s2
	s_cbranch_execz .LBB6_69
; %bb.68:                               ;   in Loop: Header=BB6_7 Depth=1
	s_wait_dscnt 0x0
	global_load_b32 v24, v23, s[18:19] scale_offset
	s_wait_loadcnt 0x0
	v_mul_f32_e32 v24, v6, v24
	global_store_b32 v23, v24, s[18:19] scale_offset
.LBB6_69:                               ;   in Loop: Header=BB6_7 Depth=1
	s_wait_xcnt 0x0
	s_or_b32 exec_lo, exec_lo, s1
	s_wait_dscnt 0x0
	v_add_nc_u32_e32 v24, v22, v0
	s_mov_b32 s1, exec_lo
	s_delay_alu instid0(VALU_DEP_1)
	v_cmpx_lt_i32_e64 v24, v23
	s_cbranch_execz .LBB6_4
; %bb.70:                               ;   in Loop: Header=BB6_7 Depth=1
	v_ashrrev_i32_e32 v25, 31, v24
	s_mov_b32 s3, 0
	s_delay_alu instid0(VALU_DEP_1)
	v_lshlrev_b64_e32 v[26:27], 2, v[24:25]
.LBB6_71:                               ;   Parent Loop BB6_7 Depth=1
                                        ; =>  This Inner Loop Header: Depth=2
	s_delay_alu instid0(VALU_DEP_1)
	v_add_nc_u64_e32 v[28:29], s[18:19], v[26:27]
	v_add_nc_u64_e32 v[30:31], s[40:41], v[26:27]
	;; [unrolled: 1-line block ×3, first 2 shown]
	v_add_nc_u32_e32 v24, s30, v24
	global_load_b32 v22, v[28:29], off
	v_cmp_ge_i32_e32 vcc_lo, v24, v23
	s_or_b32 s3, vcc_lo, s3
	s_wait_loadcnt 0x0
	v_mul_f32_e32 v22, v6, v22
	global_store_b32 v[28:29], v22, off
	global_load_b32 v22, v[30:31], off
	s_wait_loadcnt 0x0
	v_mul_f32_e32 v22, v6, v22
	global_store_b32 v[30:31], v22, off
	s_wait_xcnt 0x0
	s_and_not1_b32 exec_lo, exec_lo, s3
	s_cbranch_execnz .LBB6_71
	s_branch .LBB6_4
.LBB6_72:                               ;   in Loop: Header=BB6_74 Depth=2
	s_or_b32 exec_lo, exec_lo, s1
	s_wait_storecnt 0x0
	s_barrier_signal -1
	s_barrier_wait -1
	ds_load_b32 v22, v48
.LBB6_73:                               ;   in Loop: Header=BB6_74 Depth=2
	ds_load_2addr_b32 v[24:25], v48 offset0:5 offset1:7
	s_wait_dscnt 0x0
	v_cmp_ge_i32_e32 vcc_lo, v22, v24
	v_cmp_gt_i32_e64 s1, s24, v25
	s_and_b32 s1, vcc_lo, s1
.LBB6_74:                               ;   Parent Loop BB6_7 Depth=1
                                        ; =>  This Loop Header: Depth=2
                                        ;       Child Loop BB6_81 Depth 3
                                        ;       Child Loop BB6_101 Depth 3
	;; [unrolled: 1-line block ×3, first 2 shown]
                                        ;         Child Loop BB6_149 Depth 4
	s_delay_alu instid0(SALU_CYCLE_1)
	s_and_not1_b32 vcc_lo, exec_lo, s1
	s_cbranch_vccnz .LBB6_59
; %bb.75:                               ;   in Loop: Header=BB6_74 Depth=2
	s_and_saveexec_b32 s4, s2
	s_cbranch_execz .LBB6_144
; %bb.76:                               ;   in Loop: Header=BB6_74 Depth=2
	v_cmp_gt_i32_e32 vcc_lo, v22, v24
	s_mov_b32 s1, 0
	s_cbranch_vccnz .LBB6_78
; %bb.77:                               ;   in Loop: Header=BB6_74 Depth=2
	v_ashrrev_i32_e32 v23, 31, v22
	s_mov_b32 s3, -1
	s_delay_alu instid0(VALU_DEP_1)
	v_mov_b64_e32 v[30:31], v[22:23]
	v_mov_b32_e32 v26, v22
	s_cbranch_execz .LBB6_79
	s_branch .LBB6_84
.LBB6_78:                               ;   in Loop: Header=BB6_74 Depth=2
	s_mov_b32 s3, 0
                                        ; implicit-def: $vgpr30_vgpr31
	v_mov_b32_e32 v26, v22
.LBB6_79:                               ;   in Loop: Header=BB6_74 Depth=2
	v_dual_mov_b32 v6, v22 :: v_dual_ashrrev_i32 v23, 31, v22
	s_delay_alu instid0(VALU_DEP_1) | instskip(NEXT) | instid1(VALU_DEP_1)
	v_lshlrev_b64_e32 v[14:15], 2, v[22:23]
	v_add_nc_u64_e32 v[8:9], s[40:41], v[14:15]
	v_add_nc_u64_e32 v[14:15], s[66:67], v[14:15]
	s_branch .LBB6_81
.LBB6_80:                               ;   in Loop: Header=BB6_81 Depth=3
	v_add_nc_u32_e32 v6, -1, v49
	v_add_nc_u64_e32 v[14:15], -4, v[14:15]
	s_mov_b32 s1, 0
	s_delay_alu instid0(VALU_DEP_2)
	v_cmp_le_i32_e64 s3, v6, v24
	v_add_nc_u64_e32 v[8:9], -4, v[8:9]
	s_and_not1_b32 vcc_lo, exec_lo, s3
	s_cbranch_vccz .LBB6_83
.LBB6_81:                               ;   Parent Loop BB6_7 Depth=1
                                        ;     Parent Loop BB6_74 Depth=2
                                        ; =>    This Inner Loop Header: Depth=3
	global_load_b64 v[26:27], v[14:15], off
	global_load_b32 v28, v[8:9], off offset:-4
	s_wait_loadcnt 0x1
	v_dual_mov_b32 v49, v6 :: v_dual_mul_f32 v26, v27, v26
	s_wait_loadcnt 0x0
	v_mul_f32_e32 v27, v28, v28
	s_delay_alu instid0(VALU_DEP_2) | instskip(NEXT) | instid1(VALU_DEP_2)
	v_and_b32_e32 v26, 0x7fffffff, v26
	v_and_b32_e32 v27, 0x7fffffff, v27
	s_delay_alu instid0(VALU_DEP_2) | instskip(NEXT) | instid1(VALU_DEP_1)
	v_mul_f32_e32 v26, s10, v26
	v_cmp_le_f32_e32 vcc_lo, v27, v26
	s_cbranch_vccz .LBB6_80
; %bb.82:                               ;   in Loop: Header=BB6_74 Depth=2
	s_mov_b32 s1, -1
                                        ; implicit-def: $vgpr6
                                        ; implicit-def: $vgpr14_vgpr15
	v_add_nc_u64_e32 v[8:9], -4, v[8:9]
.LBB6_83:                               ;   in Loop: Header=BB6_74 Depth=2
	v_mov_b64_e32 v[14:15], v[22:23]
	v_mov_b64_e32 v[30:31], v[22:23]
	v_mov_b32_e32 v26, v24
	s_xor_b32 s3, s1, -1
	s_mov_b32 s1, -1
.LBB6_84:                               ;   in Loop: Header=BB6_74 Depth=2
	s_and_b32 vcc_lo, exec_lo, s3
	s_cbranch_vccnz .LBB6_113
; %bb.85:                               ;   in Loop: Header=BB6_74 Depth=2
	s_and_not1_b32 vcc_lo, exec_lo, s1
	s_cbranch_vccnz .LBB6_87
.LBB6_86:                               ;   in Loop: Header=BB6_74 Depth=2
	v_mov_b64_e32 v[30:31], v[14:15]
	v_mov_b32_e32 v26, v49
	ds_store_2addr_b32 v48, v49, v22 offset0:1 offset1:4
	global_store_b32 v[8:9], v48, off
.LBB6_87:                               ;   in Loop: Header=BB6_74 Depth=2
	v_lshl_add_u64 v[28:29], v[30:31], 2, s[18:19]
	v_add_nc_u32_e32 v6, -1, v22
	s_mov_b32 s1, exec_lo
	global_load_b32 v24, v[28:29], off
	s_wait_loadcnt 0x0
	ds_store_b32 v48, v24 offset:8
	s_wait_xcnt 0x0
	v_cmpx_ne_u32_e64 v26, v22
	s_xor_b32 s31, exec_lo, s1
	s_cbranch_execz .LBB6_141
; %bb.88:                               ;   in Loop: Header=BB6_74 Depth=2
	s_mov_b32 s1, exec_lo
	v_cmpx_ne_u32_e64 v26, v6
	s_xor_b32 s3, exec_lo, s1
	s_cbranch_execz .LBB6_117
; %bb.89:                               ;   in Loop: Header=BB6_74 Depth=2
	v_lshl_add_u64 v[30:31], v[30:31], 2, s[40:41]
	v_add_nc_u32_e32 v25, 1, v25
	s_mov_b32 s33, exec_lo
	global_load_b32 v6, v[28:29], off offset:-4
	global_load_b32 v27, v[30:31], off offset:-4
	global_load_b32 v23, v26, s[18:19] scale_offset
	ds_store_2addr_b32 v48, v48, v25 offset0:2 offset1:7
	s_wait_loadcnt 0x1
	v_dual_sub_f32 v6, v6, v24 :: v_dual_add_f32 v32, v27, v27
	s_delay_alu instid0(VALU_DEP_1) | instskip(SKIP_1) | instid1(VALU_DEP_2)
	v_div_scale_f32 v33, null, v32, v32, v6
	v_div_scale_f32 v36, vcc_lo, v6, v32, v6
	v_rcp_f32_e32 v34, v33
	v_nop
	s_delay_alu instid0(TRANS32_DEP_1) | instskip(NEXT) | instid1(VALU_DEP_1)
	v_fma_f32 v35, -v33, v34, 1.0
	v_fmac_f32_e32 v34, v35, v34
	s_delay_alu instid0(VALU_DEP_1) | instskip(NEXT) | instid1(VALU_DEP_1)
	v_mul_f32_e32 v35, v36, v34
	v_fma_f32 v37, -v33, v35, v36
	s_delay_alu instid0(VALU_DEP_1) | instskip(NEXT) | instid1(VALU_DEP_1)
	v_fmac_f32_e32 v35, v37, v34
	v_fma_f32 v33, -v33, v35, v36
	s_delay_alu instid0(VALU_DEP_1) | instskip(NEXT) | instid1(VALU_DEP_1)
	v_div_fmas_f32 v33, v33, v34, v35
	v_div_fixup_f32 v6, v33, v32, v6
	s_delay_alu instid0(VALU_DEP_1) | instskip(NEXT) | instid1(VALU_DEP_1)
	v_fma_f32 v32, v6, v6, 1.0
	v_mul_f32_e32 v33, 0x4f800000, v32
	v_cmp_gt_f32_e32 vcc_lo, 0xf800000, v32
	s_delay_alu instid0(VALU_DEP_2) | instskip(NEXT) | instid1(VALU_DEP_1)
	v_cndmask_b32_e32 v32, v32, v33, vcc_lo
	v_sqrt_f32_e32 v33, v32
	v_nop
	s_delay_alu instid0(TRANS32_DEP_1) | instskip(NEXT) | instid1(VALU_DEP_1)
	v_dual_add_nc_u32 v34, -1, v33 :: v_dual_add_nc_u32 v35, 1, v33
	v_fma_f32 v36, -v34, v33, v32
	s_delay_alu instid0(VALU_DEP_1) | instskip(NEXT) | instid1(VALU_DEP_1)
	v_cmp_ge_f32_e64 s1, 0, v36
	v_dual_fma_f32 v37, -v35, v33, v32 :: v_dual_cndmask_b32 v33, v33, v34, s1
	s_delay_alu instid0(VALU_DEP_1) | instskip(NEXT) | instid1(VALU_DEP_1)
	v_cmp_lt_f32_e64 s1, 0, v37
	v_cndmask_b32_e64 v33, v33, v35, s1
	s_delay_alu instid0(VALU_DEP_1) | instskip(NEXT) | instid1(VALU_DEP_1)
	v_mul_f32_e32 v34, 0x37800000, v33
	v_cndmask_b32_e32 v33, v33, v34, vcc_lo
	v_cmp_class_f32_e64 vcc_lo, v32, 0x260
	s_delay_alu instid0(VALU_DEP_2) | instskip(SKIP_1) | instid1(VALU_DEP_2)
	v_cndmask_b32_e32 v32, v33, v32, vcc_lo
	v_cmp_nle_f32_e32 vcc_lo, 0, v6
	v_cndmask_b32_e64 v32, |v32|, -|v32|, vcc_lo
	s_delay_alu instid0(VALU_DEP_1) | instskip(NEXT) | instid1(VALU_DEP_1)
	v_add_f32_e32 v6, v6, v32
	v_div_scale_f32 v32, null, v6, v6, v27
	v_div_scale_f32 v35, vcc_lo, v27, v6, v27
	s_delay_alu instid0(VALU_DEP_2) | instskip(SKIP_1) | instid1(TRANS32_DEP_1)
	v_rcp_f32_e32 v33, v32
	v_nop
	v_fma_f32 v34, -v32, v33, 1.0
	s_delay_alu instid0(VALU_DEP_1) | instskip(NEXT) | instid1(VALU_DEP_1)
	v_fmac_f32_e32 v33, v34, v33
	v_mul_f32_e32 v34, v35, v33
	s_delay_alu instid0(VALU_DEP_1) | instskip(NEXT) | instid1(VALU_DEP_1)
	v_fma_f32 v36, -v32, v34, v35
	v_fmac_f32_e32 v34, v36, v33
	s_delay_alu instid0(VALU_DEP_1) | instskip(NEXT) | instid1(VALU_DEP_1)
	v_fma_f32 v32, -v32, v34, v35
	v_div_fmas_f32 v32, v32, v33, v34
	s_wait_loadcnt 0x0
	v_sub_f32_e32 v33, v23, v24
	s_delay_alu instid0(VALU_DEP_2) | instskip(NEXT) | instid1(VALU_DEP_1)
	v_div_fixup_f32 v27, v32, v6, v27
	v_dual_mov_b32 v6, 0 :: v_dual_add_f32 v33, v33, v27
	s_wait_xcnt 0x0
	v_cmpx_lt_i32_e64 v26, v22
	s_cbranch_execz .LBB6_116
; %bb.90:                               ;   in Loop: Header=BB6_74 Depth=2
	v_ashrrev_i32_e32 v27, 31, v26
	s_mov_b32 s35, exec_lo
	s_delay_alu instid0(VALU_DEP_1)
	v_lshl_add_u64 v[24:25], v[26:27], 2, s[40:41]
	global_load_b32 v32, v[24:25], off
	s_wait_xcnt 0x0
	v_dual_mov_b32 v24, 0 :: v_dual_mov_b32 v25, 1.0
	s_wait_loadcnt 0x0
	v_cmpx_neq_f32_e32 0, v32
	s_cbranch_execz .LBB6_98
; %bb.91:                               ;   in Loop: Header=BB6_74 Depth=2
	v_dual_mov_b32 v25, 0 :: v_dual_mov_b32 v24, 1.0
	s_mov_b32 s68, exec_lo
	v_cmpx_neq_f32_e32 0, v33
	s_cbranch_execz .LBB6_97
; %bb.92:                               ;   in Loop: Header=BB6_74 Depth=2
	s_mov_b32 s69, exec_lo
                                        ; implicit-def: $vgpr25
	v_cmpx_ngt_f32_e64 |v32|, |v33|
	s_xor_b32 s69, exec_lo, s69
	s_cbranch_execz .LBB6_94
; %bb.93:                               ;   in Loop: Header=BB6_74 Depth=2
	v_div_scale_f32 v6, null, v33, v33, -v32
	v_div_scale_f32 v34, vcc_lo, -v32, v33, -v32
	s_delay_alu instid0(VALU_DEP_2) | instskip(SKIP_1) | instid1(TRANS32_DEP_1)
	v_rcp_f32_e32 v24, v6
	v_nop
	v_fma_f32 v25, -v6, v24, 1.0
	s_delay_alu instid0(VALU_DEP_1) | instskip(NEXT) | instid1(VALU_DEP_1)
	v_fmac_f32_e32 v24, v25, v24
	v_mul_f32_e32 v25, v34, v24
	s_delay_alu instid0(VALU_DEP_1) | instskip(NEXT) | instid1(VALU_DEP_1)
	v_fma_f32 v35, -v6, v25, v34
	v_fmac_f32_e32 v25, v35, v24
	s_delay_alu instid0(VALU_DEP_1) | instskip(NEXT) | instid1(VALU_DEP_1)
	v_fma_f32 v6, -v6, v25, v34
	v_div_fmas_f32 v6, v6, v24, v25
	s_delay_alu instid0(VALU_DEP_1) | instskip(NEXT) | instid1(VALU_DEP_1)
	v_div_fixup_f32 v6, v6, v33, -v32
	v_fma_f32 v24, v6, v6, 1.0
	s_delay_alu instid0(VALU_DEP_1) | instskip(SKIP_1) | instid1(VALU_DEP_2)
	v_mul_f32_e32 v25, 0x4f800000, v24
	v_cmp_gt_f32_e32 vcc_lo, 0xf800000, v24
	v_cndmask_b32_e32 v24, v24, v25, vcc_lo
	s_delay_alu instid0(VALU_DEP_1) | instskip(SKIP_1) | instid1(TRANS32_DEP_1)
	v_sqrt_f32_e32 v25, v24
	v_nop
	v_dual_add_nc_u32 v33, -1, v25 :: v_dual_add_nc_u32 v34, 1, v25
	s_delay_alu instid0(VALU_DEP_1) | instskip(NEXT) | instid1(VALU_DEP_1)
	v_dual_fma_f32 v35, -v33, v25, v24 :: v_dual_fma_f32 v36, -v34, v25, v24
	v_cmp_ge_f32_e64 s1, 0, v35
	s_delay_alu instid0(VALU_DEP_1) | instskip(NEXT) | instid1(VALU_DEP_3)
	v_cndmask_b32_e64 v25, v25, v33, s1
	v_cmp_lt_f32_e64 s1, 0, v36
	s_delay_alu instid0(VALU_DEP_1) | instskip(NEXT) | instid1(VALU_DEP_1)
	v_cndmask_b32_e64 v25, v25, v34, s1
	v_mul_f32_e32 v33, 0x37800000, v25
	s_delay_alu instid0(VALU_DEP_1) | instskip(SKIP_1) | instid1(VALU_DEP_2)
	v_cndmask_b32_e32 v25, v25, v33, vcc_lo
	v_cmp_class_f32_e64 vcc_lo, v24, 0x260
	v_cndmask_b32_e32 v24, v25, v24, vcc_lo
	s_delay_alu instid0(VALU_DEP_1) | instskip(NEXT) | instid1(VALU_DEP_1)
	v_div_scale_f32 v25, null, v24, v24, 1.0
	v_rcp_f32_e32 v33, v25
	v_nop
	s_delay_alu instid0(TRANS32_DEP_1) | instskip(NEXT) | instid1(VALU_DEP_1)
	v_fma_f32 v34, -v25, v33, 1.0
	v_fmac_f32_e32 v33, v34, v33
	v_div_scale_f32 v34, vcc_lo, 1.0, v24, 1.0
	s_delay_alu instid0(VALU_DEP_1) | instskip(NEXT) | instid1(VALU_DEP_1)
	v_mul_f32_e32 v35, v34, v33
	v_fma_f32 v36, -v25, v35, v34
	s_delay_alu instid0(VALU_DEP_1) | instskip(NEXT) | instid1(VALU_DEP_1)
	v_fmac_f32_e32 v35, v36, v33
	v_fma_f32 v25, -v25, v35, v34
	s_delay_alu instid0(VALU_DEP_1) | instskip(NEXT) | instid1(VALU_DEP_1)
	v_div_fmas_f32 v25, v25, v33, v35
                                        ; implicit-def: $vgpr33
	v_div_fixup_f32 v25, v25, v24, 1.0
	s_delay_alu instid0(VALU_DEP_1)
	v_mul_f32_e32 v24, v6, v25
.LBB6_94:                               ;   in Loop: Header=BB6_74 Depth=2
	s_and_not1_saveexec_b32 s69, s69
	s_cbranch_execz .LBB6_96
; %bb.95:                               ;   in Loop: Header=BB6_74 Depth=2
	v_div_scale_f32 v6, null, v32, v32, -v33
	v_div_scale_f32 v34, vcc_lo, -v33, v32, -v33
	s_delay_alu instid0(VALU_DEP_2) | instskip(SKIP_1) | instid1(TRANS32_DEP_1)
	v_rcp_f32_e32 v24, v6
	v_nop
	v_fma_f32 v25, -v6, v24, 1.0
	s_delay_alu instid0(VALU_DEP_1) | instskip(NEXT) | instid1(VALU_DEP_1)
	v_fmac_f32_e32 v24, v25, v24
	v_mul_f32_e32 v25, v34, v24
	s_delay_alu instid0(VALU_DEP_1) | instskip(NEXT) | instid1(VALU_DEP_1)
	v_fma_f32 v35, -v6, v25, v34
	v_fmac_f32_e32 v25, v35, v24
	s_delay_alu instid0(VALU_DEP_1) | instskip(NEXT) | instid1(VALU_DEP_1)
	v_fma_f32 v6, -v6, v25, v34
	v_div_fmas_f32 v6, v6, v24, v25
	s_delay_alu instid0(VALU_DEP_1) | instskip(NEXT) | instid1(VALU_DEP_1)
	v_div_fixup_f32 v6, v6, v32, -v33
	v_fma_f32 v24, v6, v6, 1.0
	s_delay_alu instid0(VALU_DEP_1) | instskip(SKIP_1) | instid1(VALU_DEP_2)
	v_mul_f32_e32 v25, 0x4f800000, v24
	v_cmp_gt_f32_e32 vcc_lo, 0xf800000, v24
	v_cndmask_b32_e32 v24, v24, v25, vcc_lo
	s_delay_alu instid0(VALU_DEP_1) | instskip(SKIP_1) | instid1(TRANS32_DEP_1)
	v_sqrt_f32_e32 v25, v24
	v_nop
	v_dual_add_nc_u32 v33, -1, v25 :: v_dual_add_nc_u32 v34, 1, v25
	s_delay_alu instid0(VALU_DEP_1) | instskip(NEXT) | instid1(VALU_DEP_1)
	v_dual_fma_f32 v35, -v33, v25, v24 :: v_dual_fma_f32 v36, -v34, v25, v24
	v_cmp_ge_f32_e64 s1, 0, v35
	s_delay_alu instid0(VALU_DEP_1) | instskip(NEXT) | instid1(VALU_DEP_3)
	v_cndmask_b32_e64 v25, v25, v33, s1
	v_cmp_lt_f32_e64 s1, 0, v36
	s_delay_alu instid0(VALU_DEP_1) | instskip(NEXT) | instid1(VALU_DEP_1)
	v_cndmask_b32_e64 v25, v25, v34, s1
	v_mul_f32_e32 v33, 0x37800000, v25
	s_delay_alu instid0(VALU_DEP_1) | instskip(SKIP_1) | instid1(VALU_DEP_2)
	v_cndmask_b32_e32 v25, v25, v33, vcc_lo
	v_cmp_class_f32_e64 vcc_lo, v24, 0x260
	v_cndmask_b32_e32 v24, v25, v24, vcc_lo
	s_delay_alu instid0(VALU_DEP_1) | instskip(NEXT) | instid1(VALU_DEP_1)
	v_div_scale_f32 v25, null, v24, v24, 1.0
	v_rcp_f32_e32 v33, v25
	v_nop
	s_delay_alu instid0(TRANS32_DEP_1) | instskip(NEXT) | instid1(VALU_DEP_1)
	v_fma_f32 v34, -v25, v33, 1.0
	v_fmac_f32_e32 v33, v34, v33
	v_div_scale_f32 v34, vcc_lo, 1.0, v24, 1.0
	s_delay_alu instid0(VALU_DEP_1) | instskip(NEXT) | instid1(VALU_DEP_1)
	v_mul_f32_e32 v35, v34, v33
	v_fma_f32 v36, -v25, v35, v34
	s_delay_alu instid0(VALU_DEP_1) | instskip(NEXT) | instid1(VALU_DEP_1)
	v_fmac_f32_e32 v35, v36, v33
	v_fma_f32 v25, -v25, v35, v34
	s_delay_alu instid0(VALU_DEP_1) | instskip(NEXT) | instid1(VALU_DEP_1)
	v_div_fmas_f32 v25, v25, v33, v35
	v_div_fixup_f32 v24, v25, v24, 1.0
	s_delay_alu instid0(VALU_DEP_1)
	v_mul_f32_e32 v25, v6, v24
.LBB6_96:                               ;   in Loop: Header=BB6_74 Depth=2
	s_or_b32 exec_lo, exec_lo, s69
.LBB6_97:                               ;   in Loop: Header=BB6_74 Depth=2
	s_delay_alu instid0(SALU_CYCLE_1)
	s_or_b32 exec_lo, exec_lo, s68
.LBB6_98:                               ;   in Loop: Header=BB6_74 Depth=2
	s_delay_alu instid0(SALU_CYCLE_1)
	s_or_b32 exec_lo, exec_lo, s35
	v_lshl_add_u64 v[36:37], v[26:27], 2, s[18:19]
	v_lshl_add_u64 v[38:39], v[26:27], 2, s[44:45]
	v_xor_b32_e32 v27, 0x80000000, v24
	s_mov_b32 s35, exec_lo
	global_load_b32 v6, v[36:37], off offset:4
	v_lshl_add_u64 v[40:41], s[6:7], 2, v[38:39]
	s_wait_loadcnt 0x0
	v_sub_f32_e32 v6, v6, v23
	s_delay_alu instid0(VALU_DEP_1) | instskip(NEXT) | instid1(VALU_DEP_1)
	v_pk_mul_f32 v[34:35], v[24:25], v[6:7]
	v_dual_fma_f32 v33, v32, v35, -v34 :: v_dual_add_nc_u32 v34, 1, v26
	s_delay_alu instid0(VALU_DEP_1)
	v_dual_mul_f32 v6, v33, -v24 :: v_dual_fma_f32 v23, v33, -v24, v23
	v_fma_f32 v33, v25, v33, -v32
	ds_store_b32 v48, v6 offset:8
	global_store_b32 v[36:37], v23, off
	s_clause 0x1
	global_store_b32 v[38:39], v25, off
	global_store_b32 v[40:41], v27, off offset:-4
	s_wait_xcnt 0x0
	v_cmpx_lt_i32_e64 v34, v22
	s_cbranch_execz .LBB6_115
; %bb.99:                               ;   in Loop: Header=BB6_74 Depth=2
	v_ashrrev_i32_e32 v35, 31, v34
	s_mov_b32 s69, 1
	s_mov_b32 s68, 0
	s_delay_alu instid0(VALU_DEP_1) | instskip(NEXT) | instid1(VALU_DEP_1)
	v_lshlrev_b64_e32 v[38:39], 2, v[34:35]
	v_add_nc_u64_e32 v[34:35], s[44:45], v[38:39]
	v_add_nc_u64_e32 v[36:37], s[58:59], v[38:39]
	;; [unrolled: 1-line block ×3, first 2 shown]
	s_branch .LBB6_101
.LBB6_100:                              ;   in Loop: Header=BB6_101 Depth=3
	global_load_b64 v[32:33], v[38:39], off
	s_add_co_i32 s69, s69, 1
	v_add_nc_u64_e32 v[36:37], 4, v[36:37]
	v_add_nc_u64_e32 v[42:43], s[60:61], v[34:35]
	v_xor_b32_e32 v27, 0x80000000, v40
	s_wait_loadcnt 0x0
	v_dual_mul_f32 v23, v25, v23 :: v_dual_sub_f32 v32, v32, v6
	s_delay_alu instid0(VALU_DEP_1) | instskip(NEXT) | instid1(VALU_DEP_1)
	v_sub_f32_e32 v6, v33, v32
	v_pk_mul_f32 v[24:25], v[40:41], v[6:7]
	s_delay_alu instid0(VALU_DEP_1) | instskip(SKIP_1) | instid1(VALU_DEP_2)
	v_fma_f32 v33, v23, v25, -v24
	v_add_nc_u64_e32 v[24:25], 4, v[38:39]
	v_dual_add_nc_u32 v6, s69, v26 :: v_dual_fma_f32 v32, v33, -v40, v32
	global_store_b32 v[38:39], v32, off
	global_store_b32 v[34:35], v41, off
	v_cmp_ge_i32_e32 vcc_lo, v6, v22
	s_wait_xcnt 0x0
	v_add_nc_u64_e32 v[34:35], 4, v[34:35]
	v_mov_b64_e32 v[38:39], v[24:25]
	v_mul_f32_e64 v6, v33, -v40
	v_dual_fma_f32 v33, v41, v33, -v23 :: v_dual_mov_b32 v25, v41
	s_or_b32 s68, vcc_lo, s68
	global_store_b32 v[42:43], v27, off
	s_wait_xcnt 0x0
	s_and_not1_b32 exec_lo, exec_lo, s68
	s_cbranch_execz .LBB6_114
.LBB6_101:                              ;   Parent Loop BB6_7 Depth=1
                                        ;     Parent Loop BB6_74 Depth=2
                                        ; =>    This Inner Loop Header: Depth=3
	global_load_b32 v23, v[36:37], off offset:4
	v_mov_b32_e32 v41, 1.0
	s_mov_b32 s70, exec_lo
	s_wait_loadcnt 0x0
	v_dual_mov_b32 v40, 0 :: v_dual_mul_f32 v32, v27, v23
	s_wait_xcnt 0x0
	s_delay_alu instid0(VALU_DEP_1)
	v_cmpx_neq_f32_e32 0, v32
	s_cbranch_execz .LBB6_111
; %bb.102:                              ;   in Loop: Header=BB6_101 Depth=3
	v_xor_b32_e32 v24, 0x80000000, v32
                                        ; implicit-def: $vgpr41
	s_mov_b32 s1, exec_lo
	v_cmpx_neq_f32_e32 0, v33
	s_xor_b32 s71, exec_lo, s1
	s_cbranch_execz .LBB6_108
; %bb.103:                              ;   in Loop: Header=BB6_101 Depth=3
	s_mov_b32 s72, exec_lo
                                        ; implicit-def: $vgpr41
	v_cmpx_ngt_f32_e64 |v32|, |v33|
	s_xor_b32 s72, exec_lo, s72
	s_cbranch_execz .LBB6_105
; %bb.104:                              ;   in Loop: Header=BB6_101 Depth=3
	v_div_scale_f32 v24, null, v33, v33, -v32
	v_div_scale_f32 v41, vcc_lo, -v32, v33, -v32
	s_delay_alu instid0(VALU_DEP_2) | instskip(SKIP_1) | instid1(TRANS32_DEP_1)
	v_rcp_f32_e32 v27, v24
	v_nop
	v_fma_f32 v40, -v24, v27, 1.0
	s_delay_alu instid0(VALU_DEP_1) | instskip(NEXT) | instid1(VALU_DEP_1)
	v_fmac_f32_e32 v27, v40, v27
	v_mul_f32_e32 v40, v41, v27
	s_delay_alu instid0(VALU_DEP_1) | instskip(NEXT) | instid1(VALU_DEP_1)
	v_fma_f32 v42, -v24, v40, v41
	v_fmac_f32_e32 v40, v42, v27
	s_delay_alu instid0(VALU_DEP_1) | instskip(NEXT) | instid1(VALU_DEP_1)
	v_fma_f32 v24, -v24, v40, v41
	v_div_fmas_f32 v24, v24, v27, v40
	s_delay_alu instid0(VALU_DEP_1) | instskip(NEXT) | instid1(VALU_DEP_1)
	v_div_fixup_f32 v24, v24, v33, -v32
	v_fma_f32 v27, v24, v24, 1.0
	s_delay_alu instid0(VALU_DEP_1) | instskip(SKIP_1) | instid1(VALU_DEP_2)
	v_mul_f32_e32 v40, 0x4f800000, v27
	v_cmp_gt_f32_e32 vcc_lo, 0xf800000, v27
	v_cndmask_b32_e32 v27, v27, v40, vcc_lo
	s_delay_alu instid0(VALU_DEP_1) | instskip(SKIP_1) | instid1(TRANS32_DEP_1)
	v_sqrt_f32_e32 v40, v27
	v_nop
	v_dual_add_nc_u32 v41, -1, v40 :: v_dual_add_nc_u32 v42, 1, v40
	s_delay_alu instid0(VALU_DEP_1) | instskip(NEXT) | instid1(VALU_DEP_1)
	v_dual_fma_f32 v43, -v41, v40, v27 :: v_dual_fma_f32 v44, -v42, v40, v27
	v_cmp_ge_f32_e64 s1, 0, v43
	s_delay_alu instid0(VALU_DEP_1) | instskip(NEXT) | instid1(VALU_DEP_3)
	v_cndmask_b32_e64 v40, v40, v41, s1
	v_cmp_lt_f32_e64 s1, 0, v44
	s_delay_alu instid0(VALU_DEP_1) | instskip(NEXT) | instid1(VALU_DEP_1)
	v_cndmask_b32_e64 v40, v40, v42, s1
	v_mul_f32_e32 v41, 0x37800000, v40
	s_delay_alu instid0(VALU_DEP_1) | instskip(SKIP_1) | instid1(VALU_DEP_2)
	v_cndmask_b32_e32 v40, v40, v41, vcc_lo
	v_cmp_class_f32_e64 vcc_lo, v27, 0x260
	v_cndmask_b32_e32 v27, v40, v27, vcc_lo
	s_delay_alu instid0(VALU_DEP_1) | instskip(NEXT) | instid1(VALU_DEP_1)
	v_div_scale_f32 v40, null, v27, v27, 1.0
	v_rcp_f32_e32 v41, v40
	v_nop
	s_delay_alu instid0(TRANS32_DEP_1) | instskip(NEXT) | instid1(VALU_DEP_1)
	v_fma_f32 v42, -v40, v41, 1.0
	v_fmac_f32_e32 v41, v42, v41
	v_div_scale_f32 v42, vcc_lo, 1.0, v27, 1.0
	s_delay_alu instid0(VALU_DEP_1) | instskip(NEXT) | instid1(VALU_DEP_1)
	v_mul_f32_e32 v43, v42, v41
	v_fma_f32 v44, -v40, v43, v42
	s_delay_alu instid0(VALU_DEP_1) | instskip(NEXT) | instid1(VALU_DEP_1)
	v_fmac_f32_e32 v43, v44, v41
	v_fma_f32 v40, -v40, v43, v42
	s_delay_alu instid0(VALU_DEP_1) | instskip(NEXT) | instid1(VALU_DEP_1)
	v_div_fmas_f32 v40, v40, v41, v43
	v_div_fixup_f32 v41, v40, v27, 1.0
	s_delay_alu instid0(VALU_DEP_1)
	v_mul_f32_e32 v40, v24, v41
.LBB6_105:                              ;   in Loop: Header=BB6_101 Depth=3
	s_and_not1_saveexec_b32 s72, s72
	s_cbranch_execz .LBB6_107
; %bb.106:                              ;   in Loop: Header=BB6_101 Depth=3
	v_div_scale_f32 v24, null, v32, v32, -v33
	v_div_scale_f32 v41, vcc_lo, -v33, v32, -v33
	s_delay_alu instid0(VALU_DEP_2) | instskip(SKIP_1) | instid1(TRANS32_DEP_1)
	v_rcp_f32_e32 v27, v24
	v_nop
	v_fma_f32 v40, -v24, v27, 1.0
	s_delay_alu instid0(VALU_DEP_1) | instskip(NEXT) | instid1(VALU_DEP_1)
	v_fmac_f32_e32 v27, v40, v27
	v_mul_f32_e32 v40, v41, v27
	s_delay_alu instid0(VALU_DEP_1) | instskip(NEXT) | instid1(VALU_DEP_1)
	v_fma_f32 v42, -v24, v40, v41
	v_fmac_f32_e32 v40, v42, v27
	s_delay_alu instid0(VALU_DEP_1) | instskip(NEXT) | instid1(VALU_DEP_1)
	v_fma_f32 v24, -v24, v40, v41
	v_div_fmas_f32 v24, v24, v27, v40
	s_delay_alu instid0(VALU_DEP_1) | instskip(NEXT) | instid1(VALU_DEP_1)
	v_div_fixup_f32 v24, v24, v32, -v33
	v_fma_f32 v27, v24, v24, 1.0
	s_delay_alu instid0(VALU_DEP_1) | instskip(SKIP_1) | instid1(VALU_DEP_2)
	v_mul_f32_e32 v40, 0x4f800000, v27
	v_cmp_gt_f32_e32 vcc_lo, 0xf800000, v27
	v_cndmask_b32_e32 v27, v27, v40, vcc_lo
	s_delay_alu instid0(VALU_DEP_1) | instskip(SKIP_1) | instid1(TRANS32_DEP_1)
	v_sqrt_f32_e32 v40, v27
	v_nop
	v_dual_add_nc_u32 v41, -1, v40 :: v_dual_add_nc_u32 v42, 1, v40
	s_delay_alu instid0(VALU_DEP_1) | instskip(NEXT) | instid1(VALU_DEP_1)
	v_dual_fma_f32 v43, -v41, v40, v27 :: v_dual_fma_f32 v44, -v42, v40, v27
	v_cmp_ge_f32_e64 s1, 0, v43
	s_delay_alu instid0(VALU_DEP_1) | instskip(NEXT) | instid1(VALU_DEP_3)
	v_cndmask_b32_e64 v40, v40, v41, s1
	v_cmp_lt_f32_e64 s1, 0, v44
	s_delay_alu instid0(VALU_DEP_1) | instskip(NEXT) | instid1(VALU_DEP_1)
	v_cndmask_b32_e64 v40, v40, v42, s1
	v_mul_f32_e32 v41, 0x37800000, v40
	s_delay_alu instid0(VALU_DEP_1) | instskip(SKIP_1) | instid1(VALU_DEP_2)
	v_cndmask_b32_e32 v40, v40, v41, vcc_lo
	v_cmp_class_f32_e64 vcc_lo, v27, 0x260
	v_cndmask_b32_e32 v27, v40, v27, vcc_lo
	s_delay_alu instid0(VALU_DEP_1) | instskip(NEXT) | instid1(VALU_DEP_1)
	v_div_scale_f32 v40, null, v27, v27, 1.0
	v_rcp_f32_e32 v41, v40
	v_nop
	s_delay_alu instid0(TRANS32_DEP_1) | instskip(NEXT) | instid1(VALU_DEP_1)
	v_fma_f32 v42, -v40, v41, 1.0
	v_fmac_f32_e32 v41, v42, v41
	v_div_scale_f32 v42, vcc_lo, 1.0, v27, 1.0
	s_delay_alu instid0(VALU_DEP_1) | instskip(NEXT) | instid1(VALU_DEP_1)
	v_mul_f32_e32 v43, v42, v41
	v_fma_f32 v44, -v40, v43, v42
	s_delay_alu instid0(VALU_DEP_1) | instskip(NEXT) | instid1(VALU_DEP_1)
	v_fmac_f32_e32 v43, v44, v41
	v_fma_f32 v40, -v40, v43, v42
	s_delay_alu instid0(VALU_DEP_1) | instskip(NEXT) | instid1(VALU_DEP_1)
	v_div_fmas_f32 v40, v40, v41, v43
	v_div_fixup_f32 v40, v40, v27, 1.0
	s_delay_alu instid0(VALU_DEP_1)
	v_mul_f32_e32 v41, v24, v40
.LBB6_107:                              ;   in Loop: Header=BB6_101 Depth=3
	s_or_b32 exec_lo, exec_lo, s72
	s_delay_alu instid0(VALU_DEP_1) | instskip(NEXT) | instid1(VALU_DEP_1)
	v_pk_mul_f32 v[32:33], v[32:33], v[40:41]
	v_sub_f32_e32 v24, v33, v32
.LBB6_108:                              ;   in Loop: Header=BB6_101 Depth=3
	s_and_not1_saveexec_b32 s1, s71
; %bb.109:                              ;   in Loop: Header=BB6_101 Depth=3
	v_dual_mov_b32 v40, 1.0 :: v_dual_mov_b32 v41, 0
; %bb.110:                              ;   in Loop: Header=BB6_101 Depth=3
	s_or_b32 exec_lo, exec_lo, s1
	s_delay_alu instid0(VALU_DEP_2)
	v_mov_b32_e32 v33, v24
.LBB6_111:                              ;   in Loop: Header=BB6_101 Depth=3
	s_or_b32 exec_lo, exec_lo, s70
	s_cmp_eq_u32 s69, 0
	s_cbranch_scc1 .LBB6_100
; %bb.112:                              ;   in Loop: Header=BB6_101 Depth=3
	global_store_b32 v[36:37], v33, off
	s_branch .LBB6_100
.LBB6_113:                              ;   in Loop: Header=BB6_74 Depth=2
	ds_store_2addr_b32 v48, v26, v22 offset0:1 offset1:4
	s_cbranch_execz .LBB6_86
	s_branch .LBB6_87
.LBB6_114:                              ;   in Loop: Header=BB6_74 Depth=2
	s_or_b32 exec_lo, exec_lo, s68
	ds_store_b32 v48, v6 offset:8
.LBB6_115:                              ;   in Loop: Header=BB6_74 Depth=2
	s_or_b32 exec_lo, exec_lo, s35
	global_load_b32 v24, v[28:29], off
.LBB6_116:                              ;   in Loop: Header=BB6_74 Depth=2
	s_wait_xcnt 0x0
	s_or_b32 exec_lo, exec_lo, s33
	s_wait_loadcnt 0x0
	v_sub_f32_e32 v6, v24, v6
                                        ; implicit-def: $vgpr26
                                        ; implicit-def: $vgpr22
                                        ; implicit-def: $vgpr24
	global_store_b32 v[28:29], v6, off
	global_store_b32 v[30:31], v33, off offset:-4
                                        ; implicit-def: $vgpr28_vgpr29
                                        ; implicit-def: $vgpr30_vgpr31
.LBB6_117:                              ;   in Loop: Header=BB6_74 Depth=2
	s_wait_xcnt 0x0
	s_and_not1_saveexec_b32 s33, s3
	s_cbranch_execz .LBB6_150
; %bb.118:                              ;   in Loop: Header=BB6_74 Depth=2
	s_clause 0x1
	global_load_b32 v32, v26, s[40:41] scale_offset
	global_load_b32 v25, v26, s[18:19] scale_offset
	s_mov_b32 s3, exec_lo
                                        ; implicit-def: $vgpr6
	s_wait_loadcnt 0x1
	v_add_f32_e32 v23, v32, v32
	s_wait_loadcnt 0x0
	v_sub_f32_e32 v27, v25, v24
	s_delay_alu instid0(VALU_DEP_2) | instskip(SKIP_1) | instid1(VALU_DEP_2)
	v_and_b32_e32 v33, 0x7fffffff, v23
	s_wait_xcnt 0x0
	v_cmpx_ngt_f32_e64 |v27|, |v23|
	s_xor_b32 s3, exec_lo, s3
	s_cbranch_execz .LBB6_124
; %bb.119:                              ;   in Loop: Header=BB6_74 Depth=2
	v_cmp_nlt_f32_e64 s1, |v27|, |v23|
                                        ; implicit-def: $vgpr6
	s_and_saveexec_b32 s35, s1
	s_delay_alu instid0(SALU_CYCLE_1)
	s_xor_b32 s1, exec_lo, s35
	s_cbranch_execz .LBB6_121
; %bb.120:                              ;   in Loop: Header=BB6_74 Depth=2
	v_cvt_f64_f32_e32 v[34:35], v33
                                        ; implicit-def: $vgpr33
	s_delay_alu instid0(VALU_DEP_1) | instskip(NEXT) | instid1(VALU_DEP_1)
	v_mul_f64_e32 v[34:35], 0x3ff6a09e667f3bcd, v[34:35]
	v_cvt_f32_f64_e32 v6, v[34:35]
.LBB6_121:                              ;   in Loop: Header=BB6_74 Depth=2
	s_and_not1_saveexec_b32 s35, s1
	s_cbranch_execz .LBB6_123
; %bb.122:                              ;   in Loop: Header=BB6_74 Depth=2
	v_and_b32_e32 v6, 0x7fffffff, v27
	s_delay_alu instid0(VALU_DEP_1) | instskip(SKIP_1) | instid1(VALU_DEP_2)
	v_div_scale_f32 v34, null, v33, v33, v6
	v_div_scale_f32 v6, vcc_lo, v6, v33, v6
	v_rcp_f32_e32 v35, v34
	v_nop
	s_delay_alu instid0(TRANS32_DEP_1) | instskip(NEXT) | instid1(VALU_DEP_1)
	v_fma_f32 v36, -v34, v35, 1.0
	v_fmac_f32_e32 v35, v36, v35
	s_delay_alu instid0(VALU_DEP_1) | instskip(NEXT) | instid1(VALU_DEP_1)
	v_mul_f32_e32 v33, v6, v35
	v_fma_f32 v36, -v34, v33, v6
	s_delay_alu instid0(VALU_DEP_1) | instskip(NEXT) | instid1(VALU_DEP_1)
	v_fmac_f32_e32 v33, v36, v35
	v_fma_f32 v6, -v34, v33, v6
	s_delay_alu instid0(VALU_DEP_1) | instskip(NEXT) | instid1(VALU_DEP_1)
	v_div_fmas_f32 v6, v6, v35, v33
	v_div_fixup_f32 v6, v6, |v23|, |v27|
	s_delay_alu instid0(VALU_DEP_1) | instskip(NEXT) | instid1(VALU_DEP_1)
	v_fma_f32 v6, v6, v6, 1.0
	v_mul_f32_e32 v33, 0x4f800000, v6
	v_cmp_gt_f32_e32 vcc_lo, 0xf800000, v6
	s_delay_alu instid0(VALU_DEP_2) | instskip(NEXT) | instid1(VALU_DEP_1)
	v_cndmask_b32_e32 v6, v6, v33, vcc_lo
	v_sqrt_f32_e32 v33, v6
	v_nop
	s_delay_alu instid0(TRANS32_DEP_1) | instskip(NEXT) | instid1(VALU_DEP_1)
	v_dual_add_nc_u32 v34, -1, v33 :: v_dual_add_nc_u32 v35, 1, v33
	v_dual_fma_f32 v36, -v34, v33, v6 :: v_dual_fma_f32 v37, -v35, v33, v6
	s_delay_alu instid0(VALU_DEP_1) | instskip(NEXT) | instid1(VALU_DEP_1)
	v_cmp_ge_f32_e64 s1, 0, v36
	v_cndmask_b32_e64 v33, v33, v34, s1
	s_delay_alu instid0(VALU_DEP_3) | instskip(NEXT) | instid1(VALU_DEP_1)
	v_cmp_lt_f32_e64 s1, 0, v37
	v_cndmask_b32_e64 v33, v33, v35, s1
	s_delay_alu instid0(VALU_DEP_1) | instskip(NEXT) | instid1(VALU_DEP_1)
	v_mul_f32_e32 v34, 0x37800000, v33
	v_cndmask_b32_e32 v33, v33, v34, vcc_lo
	v_cmp_class_f32_e64 vcc_lo, v6, 0x260
	s_delay_alu instid0(VALU_DEP_2) | instskip(NEXT) | instid1(VALU_DEP_1)
	v_cndmask_b32_e32 v6, v33, v6, vcc_lo
	v_mul_f32_e64 v6, |v23|, v6
.LBB6_123:                              ;   in Loop: Header=BB6_74 Depth=2
	s_or_b32 exec_lo, exec_lo, s35
                                        ; implicit-def: $vgpr33
.LBB6_124:                              ;   in Loop: Header=BB6_74 Depth=2
	s_and_not1_saveexec_b32 s3, s3
	s_cbranch_execz .LBB6_126
; %bb.125:                              ;   in Loop: Header=BB6_74 Depth=2
	v_and_b32_e32 v6, 0x7fffffff, v27
	s_delay_alu instid0(VALU_DEP_1) | instskip(SKIP_1) | instid1(VALU_DEP_2)
	v_div_scale_f32 v34, null, v6, v6, v33
	v_div_scale_f32 v6, vcc_lo, v33, v6, v33
	v_rcp_f32_e32 v35, v34
	v_nop
	s_delay_alu instid0(TRANS32_DEP_1) | instskip(NEXT) | instid1(VALU_DEP_1)
	v_fma_f32 v36, -v34, v35, 1.0
	v_fmac_f32_e32 v35, v36, v35
	s_delay_alu instid0(VALU_DEP_1) | instskip(NEXT) | instid1(VALU_DEP_1)
	v_mul_f32_e32 v33, v6, v35
	v_fma_f32 v36, -v34, v33, v6
	s_delay_alu instid0(VALU_DEP_1) | instskip(NEXT) | instid1(VALU_DEP_1)
	v_fmac_f32_e32 v33, v36, v35
	v_fma_f32 v6, -v34, v33, v6
	s_delay_alu instid0(VALU_DEP_1) | instskip(NEXT) | instid1(VALU_DEP_1)
	v_div_fmas_f32 v6, v6, v35, v33
	v_div_fixup_f32 v6, v6, |v27|, |v23|
	s_delay_alu instid0(VALU_DEP_1) | instskip(NEXT) | instid1(VALU_DEP_1)
	v_fma_f32 v6, v6, v6, 1.0
	v_mul_f32_e32 v33, 0x4f800000, v6
	v_cmp_gt_f32_e32 vcc_lo, 0xf800000, v6
	s_delay_alu instid0(VALU_DEP_2) | instskip(NEXT) | instid1(VALU_DEP_1)
	v_cndmask_b32_e32 v6, v6, v33, vcc_lo
	v_sqrt_f32_e32 v33, v6
	v_nop
	s_delay_alu instid0(TRANS32_DEP_1) | instskip(NEXT) | instid1(VALU_DEP_1)
	v_dual_add_nc_u32 v34, -1, v33 :: v_dual_add_nc_u32 v35, 1, v33
	v_dual_fma_f32 v36, -v34, v33, v6 :: v_dual_fma_f32 v37, -v35, v33, v6
	s_delay_alu instid0(VALU_DEP_1) | instskip(NEXT) | instid1(VALU_DEP_1)
	v_cmp_ge_f32_e64 s1, 0, v36
	v_cndmask_b32_e64 v33, v33, v34, s1
	s_delay_alu instid0(VALU_DEP_3) | instskip(NEXT) | instid1(VALU_DEP_1)
	v_cmp_lt_f32_e64 s1, 0, v37
	v_cndmask_b32_e64 v33, v33, v35, s1
	s_delay_alu instid0(VALU_DEP_1) | instskip(NEXT) | instid1(VALU_DEP_1)
	v_mul_f32_e32 v34, 0x37800000, v33
	v_cndmask_b32_e32 v33, v33, v34, vcc_lo
	v_cmp_class_f32_e64 vcc_lo, v6, 0x260
	s_delay_alu instid0(VALU_DEP_2) | instskip(NEXT) | instid1(VALU_DEP_1)
	v_cndmask_b32_e32 v6, v33, v6, vcc_lo
	v_mul_f32_e64 v6, |v27|, v6
.LBB6_126:                              ;   in Loop: Header=BB6_74 Depth=2
	s_or_b32 exec_lo, exec_lo, s3
	v_cmp_gt_f32_e64 vcc_lo, |v25|, |v24|
	v_add_f32_e32 v35, v24, v25
	s_mov_b32 s1, exec_lo
	v_dual_cndmask_b32 v34, v25, v24, vcc_lo :: v_dual_cndmask_b32 v36, v24, v25, vcc_lo
                                        ; implicit-def: $vgpr24_vgpr25
	s_delay_alu instid0(VALU_DEP_2)
	v_cmpx_ngt_f32_e32 0, v35
	s_xor_b32 s3, exec_lo, s1
	s_cbranch_execz .LBB6_132
; %bb.127:                              ;   in Loop: Header=BB6_74 Depth=2
	s_mov_b32 s1, exec_lo
                                        ; implicit-def: $vgpr24_vgpr25
	v_cmpx_nlt_f32_e32 0, v35
	s_xor_b32 s1, exec_lo, s1
; %bb.128:                              ;   in Loop: Header=BB6_74 Depth=2
	v_pk_mul_f32 v[24:25], v[6:7], v[4:5] op_sel_hi:[0,1]
                                        ; implicit-def: $vgpr35
                                        ; implicit-def: $vgpr36
                                        ; implicit-def: $vgpr34
                                        ; implicit-def: $vgpr32
; %bb.129:                              ;   in Loop: Header=BB6_74 Depth=2
	s_and_not1_saveexec_b32 s35, s1
	s_cbranch_execz .LBB6_131
; %bb.130:                              ;   in Loop: Header=BB6_74 Depth=2
	v_add_f32_e32 v24, v35, v6
	v_cvt_f64_f32_e32 v[36:37], v36
	v_cvt_f64_f32_e32 v[32:33], v32
	;; [unrolled: 1-line block ×3, first 2 shown]
	s_delay_alu instid0(VALU_DEP_4) | instskip(NEXT) | instid1(VALU_DEP_1)
	v_mul_f32_e32 v24, 0.5, v24
	v_cvt_f64_f32_e32 v[38:39], v24
	s_delay_alu instid0(VALU_DEP_1) | instskip(SKIP_2) | instid1(VALU_DEP_3)
	v_div_scale_f64 v[40:41], null, v[38:39], v[38:39], v[36:37]
	v_div_scale_f64 v[42:43], null, v[38:39], v[38:39], v[32:33]
	v_div_scale_f64 v[56:57], vcc_lo, v[36:37], v[38:39], v[36:37]
	v_rcp_f64_e32 v[44:45], v[40:41]
	s_delay_alu instid0(VALU_DEP_2) | instskip(NEXT) | instid1(TRANS32_DEP_2)
	v_rcp_f64_e32 v[46:47], v[42:43]
	v_fma_f64 v[52:53], -v[40:41], v[44:45], 1.0
	s_delay_alu instid0(TRANS32_DEP_1) | instskip(NEXT) | instid1(VALU_DEP_2)
	v_fma_f64 v[54:55], -v[42:43], v[46:47], 1.0
	v_fmac_f64_e32 v[44:45], v[44:45], v[52:53]
	s_delay_alu instid0(VALU_DEP_2) | instskip(NEXT) | instid1(VALU_DEP_2)
	v_fmac_f64_e32 v[46:47], v[46:47], v[54:55]
	v_fma_f64 v[52:53], -v[40:41], v[44:45], 1.0
	s_delay_alu instid0(VALU_DEP_2) | instskip(NEXT) | instid1(VALU_DEP_2)
	v_fma_f64 v[54:55], -v[42:43], v[46:47], 1.0
	v_fmac_f64_e32 v[44:45], v[44:45], v[52:53]
	v_div_scale_f64 v[52:53], s1, v[32:33], v[38:39], v[32:33]
	s_delay_alu instid0(VALU_DEP_3) | instskip(NEXT) | instid1(VALU_DEP_3)
	v_fmac_f64_e32 v[46:47], v[46:47], v[54:55]
	v_mul_f64_e32 v[54:55], v[56:57], v[44:45]
	s_delay_alu instid0(VALU_DEP_2) | instskip(NEXT) | instid1(VALU_DEP_2)
	v_mul_f64_e32 v[58:59], v[52:53], v[46:47]
	v_fma_f64 v[40:41], -v[40:41], v[54:55], v[56:57]
	s_delay_alu instid0(VALU_DEP_2) | instskip(NEXT) | instid1(VALU_DEP_2)
	v_fma_f64 v[42:43], -v[42:43], v[58:59], v[52:53]
	v_div_fmas_f64 v[40:41], v[40:41], v[44:45], v[54:55]
	s_mov_b32 vcc_lo, s1
	s_delay_alu instid0(VALU_DEP_2) | instskip(NEXT) | instid1(VALU_DEP_2)
	v_div_fmas_f64 v[42:43], v[42:43], v[46:47], v[58:59]
	v_div_fixup_f64 v[36:37], v[40:41], v[38:39], v[36:37]
	s_delay_alu instid0(VALU_DEP_2) | instskip(NEXT) | instid1(VALU_DEP_1)
	v_div_fixup_f64 v[42:43], v[42:43], v[38:39], v[32:33]
	v_mul_f64_e32 v[32:33], v[42:43], v[32:33]
	s_delay_alu instid0(VALU_DEP_1) | instskip(NEXT) | instid1(VALU_DEP_1)
	v_fma_f64 v[32:33], v[36:37], v[34:35], -v[32:33]
	v_cvt_f32_f64_e32 v25, v[32:33]
.LBB6_131:                              ;   in Loop: Header=BB6_74 Depth=2
	s_or_b32 exec_lo, exec_lo, s35
                                        ; implicit-def: $vgpr35
                                        ; implicit-def: $vgpr36
                                        ; implicit-def: $vgpr34
                                        ; implicit-def: $vgpr32
.LBB6_132:                              ;   in Loop: Header=BB6_74 Depth=2
	s_or_saveexec_b32 s3, s3
	v_mov_b32_e32 v33, 1
	s_xor_b32 exec_lo, exec_lo, s3
	s_cbranch_execz .LBB6_134
; %bb.133:                              ;   in Loop: Header=BB6_74 Depth=2
	v_sub_f32_e32 v24, v35, v6
	v_cvt_f64_f32_e32 v[36:37], v36
	v_cvt_f64_f32_e32 v[32:33], v32
	;; [unrolled: 1-line block ×3, first 2 shown]
	s_delay_alu instid0(VALU_DEP_4) | instskip(NEXT) | instid1(VALU_DEP_1)
	v_mul_f32_e32 v24, 0.5, v24
	v_cvt_f64_f32_e32 v[38:39], v24
	s_delay_alu instid0(VALU_DEP_1) | instskip(SKIP_2) | instid1(VALU_DEP_3)
	v_div_scale_f64 v[40:41], null, v[38:39], v[38:39], v[36:37]
	v_div_scale_f64 v[42:43], null, v[38:39], v[38:39], v[32:33]
	v_div_scale_f64 v[56:57], vcc_lo, v[36:37], v[38:39], v[36:37]
	v_rcp_f64_e32 v[44:45], v[40:41]
	s_delay_alu instid0(VALU_DEP_2) | instskip(NEXT) | instid1(TRANS32_DEP_2)
	v_rcp_f64_e32 v[46:47], v[42:43]
	v_fma_f64 v[52:53], -v[40:41], v[44:45], 1.0
	s_delay_alu instid0(TRANS32_DEP_1) | instskip(NEXT) | instid1(VALU_DEP_2)
	v_fma_f64 v[54:55], -v[42:43], v[46:47], 1.0
	v_fmac_f64_e32 v[44:45], v[44:45], v[52:53]
	s_delay_alu instid0(VALU_DEP_2) | instskip(NEXT) | instid1(VALU_DEP_2)
	v_fmac_f64_e32 v[46:47], v[46:47], v[54:55]
	v_fma_f64 v[52:53], -v[40:41], v[44:45], 1.0
	s_delay_alu instid0(VALU_DEP_2) | instskip(NEXT) | instid1(VALU_DEP_2)
	v_fma_f64 v[54:55], -v[42:43], v[46:47], 1.0
	v_fmac_f64_e32 v[44:45], v[44:45], v[52:53]
	v_div_scale_f64 v[52:53], s1, v[32:33], v[38:39], v[32:33]
	s_delay_alu instid0(VALU_DEP_3) | instskip(NEXT) | instid1(VALU_DEP_3)
	v_fmac_f64_e32 v[46:47], v[46:47], v[54:55]
	v_mul_f64_e32 v[54:55], v[56:57], v[44:45]
	s_delay_alu instid0(VALU_DEP_2) | instskip(NEXT) | instid1(VALU_DEP_2)
	v_mul_f64_e32 v[58:59], v[52:53], v[46:47]
	v_fma_f64 v[40:41], -v[40:41], v[54:55], v[56:57]
	s_delay_alu instid0(VALU_DEP_2) | instskip(NEXT) | instid1(VALU_DEP_2)
	v_fma_f64 v[42:43], -v[42:43], v[58:59], v[52:53]
	v_div_fmas_f64 v[40:41], v[40:41], v[44:45], v[54:55]
	s_mov_b32 vcc_lo, s1
	s_delay_alu instid0(VALU_DEP_2) | instskip(NEXT) | instid1(VALU_DEP_2)
	v_div_fmas_f64 v[42:43], v[42:43], v[46:47], v[58:59]
	v_div_fixup_f64 v[36:37], v[40:41], v[38:39], v[36:37]
	s_delay_alu instid0(VALU_DEP_2) | instskip(NEXT) | instid1(VALU_DEP_1)
	v_div_fixup_f64 v[42:43], v[42:43], v[38:39], v[32:33]
	v_mul_f64_e32 v[32:33], v[42:43], v[32:33]
	s_delay_alu instid0(VALU_DEP_1) | instskip(NEXT) | instid1(VALU_DEP_1)
	v_fma_f64 v[32:33], v[36:37], v[34:35], -v[32:33]
	v_cvt_f32_f64_e32 v25, v[32:33]
	v_mov_b32_e32 v33, -1
.LBB6_134:                              ;   in Loop: Header=BB6_74 Depth=2
	s_or_b32 exec_lo, exec_lo, s3
	v_cmp_nle_f32_e64 s1, 0, v27
	s_mov_b32 s35, exec_lo
                                        ; implicit-def: $vgpr32
                                        ; implicit-def: $vgpr34
	v_cndmask_b32_e64 v6, v6, -v6, s1
	s_delay_alu instid0(VALU_DEP_1) | instskip(NEXT) | instid1(VALU_DEP_1)
	v_add_f32_e32 v6, v27, v6
	v_cmpx_ngt_f32_e64 |v6|, |v23|
	s_xor_b32 s35, exec_lo, s35
	s_cbranch_execz .LBB6_138
; %bb.135:                              ;   in Loop: Header=BB6_74 Depth=2
	v_dual_mov_b32 v32, 0 :: v_dual_mov_b32 v34, 1.0
	s_mov_b32 s68, exec_lo
	v_cmpx_neq_f32_e32 0, v23
	s_cbranch_execz .LBB6_137
; %bb.136:                              ;   in Loop: Header=BB6_74 Depth=2
	v_div_scale_f32 v27, null, v23, v23, -v6
	v_div_scale_f32 v35, vcc_lo, -v6, v23, -v6
	s_delay_alu instid0(VALU_DEP_2) | instskip(SKIP_1) | instid1(TRANS32_DEP_1)
	v_rcp_f32_e32 v32, v27
	v_nop
	v_fma_f32 v34, -v27, v32, 1.0
	s_delay_alu instid0(VALU_DEP_1) | instskip(NEXT) | instid1(VALU_DEP_1)
	v_fmac_f32_e32 v32, v34, v32
	v_mul_f32_e32 v34, v35, v32
	s_delay_alu instid0(VALU_DEP_1) | instskip(NEXT) | instid1(VALU_DEP_1)
	v_fma_f32 v36, -v27, v34, v35
	v_fmac_f32_e32 v34, v36, v32
	s_delay_alu instid0(VALU_DEP_1) | instskip(NEXT) | instid1(VALU_DEP_1)
	v_fma_f32 v27, -v27, v34, v35
	v_div_fmas_f32 v27, v27, v32, v34
	s_delay_alu instid0(VALU_DEP_1) | instskip(NEXT) | instid1(VALU_DEP_1)
	v_div_fixup_f32 v6, v27, v23, -v6
	v_fma_f32 v23, v6, v6, 1.0
	s_delay_alu instid0(VALU_DEP_1) | instskip(SKIP_1) | instid1(VALU_DEP_2)
	v_mul_f32_e32 v27, 0x4f800000, v23
	v_cmp_gt_f32_e32 vcc_lo, 0xf800000, v23
	v_cndmask_b32_e32 v23, v23, v27, vcc_lo
	s_delay_alu instid0(VALU_DEP_1) | instskip(SKIP_1) | instid1(TRANS32_DEP_1)
	v_sqrt_f32_e32 v27, v23
	v_nop
	v_dual_add_nc_u32 v32, -1, v27 :: v_dual_add_nc_u32 v34, 1, v27
	s_delay_alu instid0(VALU_DEP_1) | instskip(NEXT) | instid1(VALU_DEP_1)
	v_dual_fma_f32 v35, -v32, v27, v23 :: v_dual_fma_f32 v36, -v34, v27, v23
	v_cmp_ge_f32_e64 s3, 0, v35
	s_delay_alu instid0(VALU_DEP_1) | instskip(NEXT) | instid1(VALU_DEP_3)
	v_cndmask_b32_e64 v27, v27, v32, s3
	v_cmp_lt_f32_e64 s3, 0, v36
	s_delay_alu instid0(VALU_DEP_1) | instskip(NEXT) | instid1(VALU_DEP_1)
	v_cndmask_b32_e64 v27, v27, v34, s3
	v_mul_f32_e32 v32, 0x37800000, v27
	s_delay_alu instid0(VALU_DEP_1) | instskip(SKIP_1) | instid1(VALU_DEP_2)
	v_cndmask_b32_e32 v27, v27, v32, vcc_lo
	v_cmp_class_f32_e64 vcc_lo, v23, 0x260
	v_cndmask_b32_e32 v23, v27, v23, vcc_lo
	s_delay_alu instid0(VALU_DEP_1) | instskip(NEXT) | instid1(VALU_DEP_1)
	v_div_scale_f32 v27, null, v23, v23, 1.0
	v_rcp_f32_e32 v32, v27
	v_nop
	s_delay_alu instid0(TRANS32_DEP_1) | instskip(NEXT) | instid1(VALU_DEP_1)
	v_fma_f32 v34, -v27, v32, 1.0
	v_fmac_f32_e32 v32, v34, v32
	v_div_scale_f32 v34, vcc_lo, 1.0, v23, 1.0
	s_delay_alu instid0(VALU_DEP_1) | instskip(NEXT) | instid1(VALU_DEP_1)
	v_mul_f32_e32 v35, v34, v32
	v_fma_f32 v36, -v27, v35, v34
	s_delay_alu instid0(VALU_DEP_1) | instskip(NEXT) | instid1(VALU_DEP_1)
	v_fmac_f32_e32 v35, v36, v32
	v_fma_f32 v27, -v27, v35, v34
	s_delay_alu instid0(VALU_DEP_1) | instskip(NEXT) | instid1(VALU_DEP_1)
	v_div_fmas_f32 v27, v27, v32, v35
	v_div_fixup_f32 v34, v27, v23, 1.0
	s_delay_alu instid0(VALU_DEP_1)
	v_mul_f32_e32 v32, v6, v34
.LBB6_137:                              ;   in Loop: Header=BB6_74 Depth=2
	s_or_b32 exec_lo, exec_lo, s68
                                        ; implicit-def: $vgpr6
                                        ; implicit-def: $vgpr23
.LBB6_138:                              ;   in Loop: Header=BB6_74 Depth=2
	s_and_not1_saveexec_b32 s35, s35
	s_cbranch_execz .LBB6_140
; %bb.139:                              ;   in Loop: Header=BB6_74 Depth=2
	v_div_scale_f32 v27, null, v6, v6, -v23
	v_div_scale_f32 v35, vcc_lo, -v23, v6, -v23
	s_delay_alu instid0(VALU_DEP_2) | instskip(SKIP_1) | instid1(TRANS32_DEP_1)
	v_rcp_f32_e32 v32, v27
	v_nop
	v_fma_f32 v34, -v27, v32, 1.0
	s_delay_alu instid0(VALU_DEP_1) | instskip(NEXT) | instid1(VALU_DEP_1)
	v_fmac_f32_e32 v32, v34, v32
	v_mul_f32_e32 v34, v35, v32
	s_delay_alu instid0(VALU_DEP_1) | instskip(NEXT) | instid1(VALU_DEP_1)
	v_fma_f32 v36, -v27, v34, v35
	v_fmac_f32_e32 v34, v36, v32
	s_delay_alu instid0(VALU_DEP_1) | instskip(NEXT) | instid1(VALU_DEP_1)
	v_fma_f32 v27, -v27, v34, v35
	v_div_fmas_f32 v27, v27, v32, v34
	s_delay_alu instid0(VALU_DEP_1) | instskip(NEXT) | instid1(VALU_DEP_1)
	v_div_fixup_f32 v6, v27, v6, -v23
	v_fma_f32 v23, v6, v6, 1.0
	s_delay_alu instid0(VALU_DEP_1) | instskip(SKIP_1) | instid1(VALU_DEP_2)
	v_mul_f32_e32 v27, 0x4f800000, v23
	v_cmp_gt_f32_e32 vcc_lo, 0xf800000, v23
	v_cndmask_b32_e32 v23, v23, v27, vcc_lo
	s_delay_alu instid0(VALU_DEP_1) | instskip(SKIP_1) | instid1(TRANS32_DEP_1)
	v_sqrt_f32_e32 v27, v23
	v_nop
	v_dual_add_nc_u32 v32, -1, v27 :: v_dual_add_nc_u32 v34, 1, v27
	s_delay_alu instid0(VALU_DEP_1) | instskip(NEXT) | instid1(VALU_DEP_1)
	v_dual_fma_f32 v35, -v32, v27, v23 :: v_dual_fma_f32 v36, -v34, v27, v23
	v_cmp_ge_f32_e64 s3, 0, v35
	s_delay_alu instid0(VALU_DEP_1) | instskip(NEXT) | instid1(VALU_DEP_3)
	v_cndmask_b32_e64 v27, v27, v32, s3
	v_cmp_lt_f32_e64 s3, 0, v36
	s_delay_alu instid0(VALU_DEP_1) | instskip(NEXT) | instid1(VALU_DEP_1)
	v_cndmask_b32_e64 v27, v27, v34, s3
	v_mul_f32_e32 v32, 0x37800000, v27
	s_delay_alu instid0(VALU_DEP_1) | instskip(SKIP_1) | instid1(VALU_DEP_2)
	v_cndmask_b32_e32 v27, v27, v32, vcc_lo
	v_cmp_class_f32_e64 vcc_lo, v23, 0x260
	v_cndmask_b32_e32 v23, v27, v23, vcc_lo
	s_delay_alu instid0(VALU_DEP_1) | instskip(NEXT) | instid1(VALU_DEP_1)
	v_div_scale_f32 v27, null, v23, v23, 1.0
	v_rcp_f32_e32 v32, v27
	v_nop
	s_delay_alu instid0(TRANS32_DEP_1) | instskip(NEXT) | instid1(VALU_DEP_1)
	v_fma_f32 v34, -v27, v32, 1.0
	v_fmac_f32_e32 v32, v34, v32
	v_div_scale_f32 v34, vcc_lo, 1.0, v23, 1.0
	s_delay_alu instid0(VALU_DEP_1) | instskip(NEXT) | instid1(VALU_DEP_1)
	v_mul_f32_e32 v35, v34, v32
	v_fma_f32 v36, -v27, v35, v34
	s_delay_alu instid0(VALU_DEP_1) | instskip(NEXT) | instid1(VALU_DEP_1)
	v_fmac_f32_e32 v35, v36, v32
	v_fma_f32 v27, -v27, v35, v34
	s_delay_alu instid0(VALU_DEP_1) | instskip(NEXT) | instid1(VALU_DEP_1)
	v_div_fmas_f32 v27, v27, v32, v35
	v_div_fixup_f32 v32, v27, v23, 1.0
	s_delay_alu instid0(VALU_DEP_1)
	v_mul_f32_e32 v34, v6, v32
.LBB6_140:                              ;   in Loop: Header=BB6_74 Depth=2
	s_or_b32 exec_lo, exec_lo, s35
	v_cndmask_b32_e64 v6, 1, -1, s1
	v_add_nc_u32_e32 v22, -2, v22
	v_lshl_add_u64 v[30:31], v[30:31], 2, s[40:41]
	s_delay_alu instid0(VALU_DEP_3) | instskip(SKIP_1) | instid1(VALU_DEP_1)
	v_cmp_eq_u32_e32 vcc_lo, v33, v6
	v_dual_ashrrev_i32 v27, 31, v26 :: v_dual_cndmask_b32 v6, v34, -v32, vcc_lo
	v_lshl_add_u64 v[26:27], v[26:27], 2, s[44:45]
	v_cndmask_b32_e32 v23, v32, v34, vcc_lo
	s_delay_alu instid0(VALU_DEP_2)
	v_lshl_add_u64 v[32:33], s[6:7], 2, v[26:27]
	s_clause 0x1
	global_store_b32 v[26:27], v6, off
	global_store_b32 v[32:33], v23, off offset:-4
	global_store_b64 v[28:29], v[24:25], off offset:-4
	global_store_b32 v[30:31], v48, off offset:-4
	ds_store_b32 v48, v22
	s_wait_xcnt 0x0
	s_or_b32 exec_lo, exec_lo, s33
                                        ; implicit-def: $vgpr6
.LBB6_141:                              ;   in Loop: Header=BB6_74 Depth=2
	s_and_not1_saveexec_b32 s1, s31
.LBB6_142:                              ;   in Loop: Header=BB6_74 Depth=2
	ds_store_b32 v48, v6
.LBB6_143:                              ;   in Loop: Header=BB6_74 Depth=2
	s_or_b32 exec_lo, exec_lo, s1
.LBB6_144:                              ;   in Loop: Header=BB6_74 Depth=2
	s_delay_alu instid0(SALU_CYCLE_1)
	s_or_b32 exec_lo, exec_lo, s4
	s_wait_storecnt_dscnt 0x0
	s_barrier_signal -1
	s_barrier_wait -1
	ds_load_b64 v[22:23], v48
	s_wait_dscnt 0x0
	v_readfirstlane_b32 s70, v23
	s_delay_alu instid0(VALU_DEP_1)
	v_cmp_eq_u32_e32 vcc_lo, s70, v22
	v_mov_b32_e32 v22, s70
	s_cbranch_vccnz .LBB6_73
; %bb.145:                              ;   in Loop: Header=BB6_74 Depth=2
	s_and_saveexec_b32 s1, s0
	s_cbranch_execz .LBB6_72
; %bb.146:                              ;   in Loop: Header=BB6_74 Depth=2
	ds_load_b32 v6, v48 offset:16
	s_mul_i32 s72, s70, s11
	s_ashr_i32 s71, s70, 31
	s_ashr_i32 s73, s72, 31
	s_lshl_b64 s[68:69], s[70:71], 2
	s_lshl_b64 s[74:75], s[72:73], 2
	v_mov_b32_e32 v24, v0
	v_add_nc_u64_e32 v[22:23], s[74:75], v[2:3]
	s_add_nc_u64 s[72:73], s[42:43], s[74:75]
	s_add_nc_u64 s[68:69], s[44:45], s[68:69]
	s_mov_b32 s4, 0
	s_wait_dscnt 0x0
	v_readfirstlane_b32 s3, v6
	s_sub_co_i32 s70, s3, s70
	s_delay_alu instid0(SALU_CYCLE_1) | instskip(SKIP_2) | instid1(SALU_CYCLE_1)
	s_cmp_gt_i32 s70, 0
	s_cselect_b32 s3, -1, 0
	s_ashr_i32 s71, s70, 31
	s_mul_u64 s[74:75], s[70:71], s[46:47]
	s_delay_alu instid0(SALU_CYCLE_1) | instskip(NEXT) | instid1(SALU_CYCLE_1)
	s_lshl_b64 s[74:75], s[74:75], 2
	s_add_nc_u64 s[74:75], s[72:73], s[74:75]
	s_branch .LBB6_148
.LBB6_147:                              ;   in Loop: Header=BB6_148 Depth=3
	v_ashrrev_i32_e32 v25, 31, v24
	v_add_nc_u64_e32 v[22:23], s[52:53], v[22:23]
	s_delay_alu instid0(VALU_DEP_2)
	v_lshl_add_u64 v[28:29], v[24:25], 2, s[74:75]
	s_wait_xcnt 0x0
	v_add_nc_u32_e32 v24, s30, v24
	s_wait_loadcnt 0x0
	global_store_b32 v[28:29], v26, off
	v_cmp_le_i32_e32 vcc_lo, s6, v24
	s_or_b32 s4, vcc_lo, s4
	s_wait_xcnt 0x0
	s_and_not1_b32 exec_lo, exec_lo, s4
	s_cbranch_execz .LBB6_72
.LBB6_148:                              ;   Parent Loop BB6_7 Depth=1
                                        ;     Parent Loop BB6_74 Depth=2
                                        ; =>    This Loop Header: Depth=3
                                        ;         Child Loop BB6_149 Depth 4
	global_load_b32 v26, v24, s[72:73] scale_offset
	v_mov_b64_e32 v[28:29], v[22:23]
	s_and_not1_b32 vcc_lo, exec_lo, s3
	s_mov_b64 s[76:77], s[68:69]
	s_mov_b32 s31, s70
	s_cbranch_vccnz .LBB6_147
.LBB6_149:                              ;   Parent Loop BB6_7 Depth=1
                                        ;     Parent Loop BB6_74 Depth=2
                                        ;       Parent Loop BB6_148 Depth=3
                                        ; =>      This Inner Loop Header: Depth=4
	s_delay_alu instid0(VALU_DEP_1)
	v_add_nc_u64_e32 v[30:31], s[62:63], v[28:29]
	s_add_nc_u64 s[78:79], s[76:77], s[60:61]
	s_add_co_i32 s31, s31, -1
	s_clause 0x1
	global_load_b32 v32, v48, s[76:77]
	global_load_b32 v27, v48, s[78:79]
	global_load_b32 v33, v[30:31], off
	s_wait_loadcnt 0x3
	v_mov_b32_e32 v35, v26
	s_cmp_eq_u32 s31, 0
	s_wait_xcnt 0x2
	s_add_nc_u64 s[76:77], s[76:77], 4
	s_wait_loadcnt 0x2
	v_mov_b32_e32 v34, v32
	s_wait_loadcnt 0x0
	v_pk_mul_f32 v[36:37], v[26:27], v[32:33]
	s_delay_alu instid0(VALU_DEP_1) | instskip(NEXT) | instid1(VALU_DEP_1)
	v_dual_mov_b32 v26, v33 :: v_dual_add_f32 v6, v36, v37
	v_pk_mul_f32 v[26:27], v[34:35], v[26:27]
	global_store_b32 v[28:29], v6, off
	s_wait_xcnt 0x0
	v_mov_b64_e32 v[28:29], v[30:31]
	v_sub_f32_e32 v26, v26, v27
	s_cbranch_scc0 .LBB6_149
	s_branch .LBB6_147
.LBB6_150:                              ;   in Loop: Header=BB6_74 Depth=2
	s_or_b32 exec_lo, exec_lo, s33
                                        ; implicit-def: $vgpr6
	s_and_not1_saveexec_b32 s1, s31
	s_cbranch_execnz .LBB6_142
	s_branch .LBB6_143
.LBB6_151:                              ;   in Loop: Header=BB6_153 Depth=2
	s_or_b32 exec_lo, exec_lo, s3
	s_wait_storecnt 0x0
	s_barrier_signal -1
	s_barrier_wait -1
	ds_load_b32 v30, v48
.LBB6_152:                              ;   in Loop: Header=BB6_153 Depth=2
	ds_load_2addr_b32 v[38:39], v48 offset0:5 offset1:7
	s_wait_dscnt 0x0
	v_cmp_le_i32_e32 vcc_lo, v30, v38
	v_cmp_gt_i32_e64 s3, s24, v39
	s_and_b32 s3, vcc_lo, s3
	s_delay_alu instid0(SALU_CYCLE_1)
	s_and_not1_b32 vcc_lo, exec_lo, s3
	s_cbranch_vccnz .LBB6_56
.LBB6_153:                              ;   Parent Loop BB6_7 Depth=1
                                        ; =>  This Loop Header: Depth=2
                                        ;       Child Loop BB6_159 Depth 3
                                        ;       Child Loop BB6_179 Depth 3
	;; [unrolled: 1-line block ×3, first 2 shown]
                                        ;         Child Loop BB6_227 Depth 4
	s_and_saveexec_b32 s31, s2
	s_cbranch_execz .LBB6_222
; %bb.154:                              ;   in Loop: Header=BB6_153 Depth=2
	v_cmp_lt_i32_e32 vcc_lo, v30, v38
	s_mov_b32 s3, 0
	s_cbranch_vccnz .LBB6_156
; %bb.155:                              ;   in Loop: Header=BB6_153 Depth=2
	v_ashrrev_i32_e32 v31, 31, v30
	s_mov_b32 s4, -1
	s_delay_alu instid0(VALU_DEP_1)
	v_mov_b64_e32 v[36:37], v[30:31]
	v_mov_b32_e32 v34, v30
	s_cbranch_execz .LBB6_157
	s_branch .LBB6_162
.LBB6_156:                              ;   in Loop: Header=BB6_153 Depth=2
	s_mov_b32 s4, 0
                                        ; implicit-def: $vgpr36_vgpr37
	v_mov_b32_e32 v34, v30
.LBB6_157:                              ;   in Loop: Header=BB6_153 Depth=2
	v_dual_mov_b32 v6, v30 :: v_dual_ashrrev_i32 v31, 31, v30
	s_delay_alu instid0(VALU_DEP_1) | instskip(NEXT) | instid1(VALU_DEP_1)
	v_lshlrev_b64_e32 v[26:27], 2, v[30:31]
	v_add_nc_u64_e32 v[32:33], s[40:41], v[26:27]
	v_add_nc_u64_e32 v[28:29], s[48:49], v[26:27]
	s_branch .LBB6_159
.LBB6_158:                              ;   in Loop: Header=BB6_159 Depth=3
	s_delay_alu instid0(VALU_DEP_1) | instskip(SKIP_3) | instid1(VALU_DEP_3)
	v_add_nc_u32_e32 v6, 1, v23
	v_add_nc_u64_e32 v[32:33], 4, v[26:27]
	v_add_nc_u64_e32 v[28:29], 4, v[28:29]
	s_mov_b32 s3, 0
	v_cmp_ge_i32_e64 s4, v6, v38
	s_and_not1_b32 vcc_lo, exec_lo, s4
	s_cbranch_vccz .LBB6_161
.LBB6_159:                              ;   Parent Loop BB6_7 Depth=1
                                        ;     Parent Loop BB6_153 Depth=2
                                        ; =>    This Inner Loop Header: Depth=3
	s_delay_alu instid0(VALU_DEP_2) | instskip(SKIP_4) | instid1(VALU_DEP_1)
	v_mov_b64_e32 v[26:27], v[32:33]
	global_load_b64 v[32:33], v[28:29], off
	global_load_b32 v23, v[26:27], off
	s_wait_loadcnt 0x0
	v_dual_mul_f32 v32, v32, v33 :: v_dual_mul_f32 v23, v23, v23
	v_and_b32_e32 v32, 0x7fffffff, v32
	s_delay_alu instid0(VALU_DEP_2) | instskip(NEXT) | instid1(VALU_DEP_2)
	v_and_b32_e32 v23, 0x7fffffff, v23
	v_mul_f32_e32 v32, s10, v32
	s_delay_alu instid0(VALU_DEP_1)
	v_cmp_le_f32_e32 vcc_lo, v23, v32
	v_mov_b32_e32 v23, v6
	s_cbranch_vccz .LBB6_158
; %bb.160:                              ;   in Loop: Header=BB6_153 Depth=2
	s_mov_b32 s3, -1
                                        ; implicit-def: $vgpr6
                                        ; implicit-def: $vgpr32_vgpr33
                                        ; implicit-def: $vgpr28_vgpr29
.LBB6_161:                              ;   in Loop: Header=BB6_153 Depth=2
	v_mov_b64_e32 v[28:29], v[30:31]
	v_mov_b64_e32 v[36:37], v[30:31]
	v_mov_b32_e32 v34, v38
	s_xor_b32 s4, s3, -1
	s_mov_b32 s3, -1
.LBB6_162:                              ;   in Loop: Header=BB6_153 Depth=2
	s_and_b32 vcc_lo, exec_lo, s4
	s_cbranch_vccnz .LBB6_191
; %bb.163:                              ;   in Loop: Header=BB6_153 Depth=2
	s_and_not1_b32 vcc_lo, exec_lo, s3
	s_cbranch_vccnz .LBB6_165
.LBB6_164:                              ;   in Loop: Header=BB6_153 Depth=2
	v_mov_b64_e32 v[36:37], v[28:29]
	v_mov_b32_e32 v34, v23
	ds_store_2addr_b32 v48, v23, v30 offset0:1 offset1:4
	global_store_b32 v[26:27], v48, off
.LBB6_165:                              ;   in Loop: Header=BB6_153 Depth=2
	v_lshl_add_u64 v[32:33], v[36:37], 2, s[18:19]
	v_add_nc_u32_e32 v6, 1, v30
	s_mov_b32 s3, exec_lo
	global_load_b32 v38, v[32:33], off
	s_wait_loadcnt 0x0
	ds_store_b32 v48, v38 offset:8
	s_wait_xcnt 0x0
	v_cmpx_ne_u32_e64 v34, v30
	s_xor_b32 s33, exec_lo, s3
	s_cbranch_execz .LBB6_219
; %bb.166:                              ;   in Loop: Header=BB6_153 Depth=2
	s_mov_b32 s3, exec_lo
	v_cmpx_ne_u32_e64 v34, v6
	s_xor_b32 s4, exec_lo, s3
	s_cbranch_execz .LBB6_195
; %bb.167:                              ;   in Loop: Header=BB6_153 Depth=2
	v_lshl_add_u64 v[36:37], v[36:37], 2, s[40:41]
	s_mov_b32 s35, exec_lo
	global_load_b32 v6, v[32:33], off offset:4
	global_load_b32 v35, v[36:37], off
	global_load_b32 v31, v34, s[18:19] scale_offset
	v_add_nc_u32_e32 v39, 1, v39
	ds_store_2addr_b32 v48, v48, v39 offset0:2 offset1:7
	s_wait_loadcnt 0x1
	v_dual_sub_f32 v6, v6, v38 :: v_dual_add_f32 v40, v35, v35
	s_delay_alu instid0(VALU_DEP_1) | instskip(SKIP_1) | instid1(VALU_DEP_2)
	v_div_scale_f32 v41, null, v40, v40, v6
	v_div_scale_f32 v44, vcc_lo, v6, v40, v6
	v_rcp_f32_e32 v42, v41
	v_nop
	s_delay_alu instid0(TRANS32_DEP_1) | instskip(NEXT) | instid1(VALU_DEP_1)
	v_fma_f32 v43, -v41, v42, 1.0
	v_fmac_f32_e32 v42, v43, v42
	s_delay_alu instid0(VALU_DEP_1) | instskip(NEXT) | instid1(VALU_DEP_1)
	v_mul_f32_e32 v43, v44, v42
	v_fma_f32 v45, -v41, v43, v44
	s_delay_alu instid0(VALU_DEP_1) | instskip(NEXT) | instid1(VALU_DEP_1)
	v_fmac_f32_e32 v43, v45, v42
	v_fma_f32 v41, -v41, v43, v44
	s_delay_alu instid0(VALU_DEP_1) | instskip(NEXT) | instid1(VALU_DEP_1)
	v_div_fmas_f32 v41, v41, v42, v43
	v_div_fixup_f32 v6, v41, v40, v6
	s_delay_alu instid0(VALU_DEP_1) | instskip(NEXT) | instid1(VALU_DEP_1)
	v_fma_f32 v40, v6, v6, 1.0
	v_mul_f32_e32 v41, 0x4f800000, v40
	v_cmp_gt_f32_e32 vcc_lo, 0xf800000, v40
	s_delay_alu instid0(VALU_DEP_2) | instskip(NEXT) | instid1(VALU_DEP_1)
	v_cndmask_b32_e32 v40, v40, v41, vcc_lo
	v_sqrt_f32_e32 v41, v40
	v_nop
	s_delay_alu instid0(TRANS32_DEP_1) | instskip(NEXT) | instid1(VALU_DEP_1)
	v_dual_add_nc_u32 v42, -1, v41 :: v_dual_add_nc_u32 v43, 1, v41
	v_fma_f32 v44, -v42, v41, v40
	s_delay_alu instid0(VALU_DEP_1) | instskip(NEXT) | instid1(VALU_DEP_1)
	v_cmp_ge_f32_e64 s3, 0, v44
	v_dual_fma_f32 v45, -v43, v41, v40 :: v_dual_cndmask_b32 v41, v41, v42, s3
	s_delay_alu instid0(VALU_DEP_1) | instskip(NEXT) | instid1(VALU_DEP_1)
	v_cmp_lt_f32_e64 s3, 0, v45
	v_cndmask_b32_e64 v41, v41, v43, s3
	s_delay_alu instid0(VALU_DEP_1) | instskip(NEXT) | instid1(VALU_DEP_1)
	v_mul_f32_e32 v42, 0x37800000, v41
	v_cndmask_b32_e32 v41, v41, v42, vcc_lo
	v_cmp_class_f32_e64 vcc_lo, v40, 0x260
	s_delay_alu instid0(VALU_DEP_2) | instskip(SKIP_1) | instid1(VALU_DEP_2)
	v_cndmask_b32_e32 v40, v41, v40, vcc_lo
	v_cmp_nle_f32_e32 vcc_lo, 0, v6
	v_cndmask_b32_e64 v40, |v40|, -|v40|, vcc_lo
	s_delay_alu instid0(VALU_DEP_1) | instskip(NEXT) | instid1(VALU_DEP_1)
	v_add_f32_e32 v6, v6, v40
	v_div_scale_f32 v40, null, v6, v6, v35
	v_div_scale_f32 v43, vcc_lo, v35, v6, v35
	s_delay_alu instid0(VALU_DEP_2) | instskip(SKIP_1) | instid1(TRANS32_DEP_1)
	v_rcp_f32_e32 v41, v40
	v_nop
	v_fma_f32 v42, -v40, v41, 1.0
	s_delay_alu instid0(VALU_DEP_1) | instskip(NEXT) | instid1(VALU_DEP_1)
	v_fmac_f32_e32 v41, v42, v41
	v_mul_f32_e32 v42, v43, v41
	s_delay_alu instid0(VALU_DEP_1) | instskip(NEXT) | instid1(VALU_DEP_1)
	v_fma_f32 v44, -v40, v42, v43
	v_fmac_f32_e32 v42, v44, v41
	s_delay_alu instid0(VALU_DEP_1) | instskip(NEXT) | instid1(VALU_DEP_1)
	v_fma_f32 v40, -v40, v42, v43
	v_div_fmas_f32 v40, v40, v41, v42
	s_wait_loadcnt 0x0
	v_sub_f32_e32 v41, v31, v38
	s_delay_alu instid0(VALU_DEP_2) | instskip(NEXT) | instid1(VALU_DEP_1)
	v_div_fixup_f32 v35, v40, v6, v35
	v_dual_mov_b32 v6, 0 :: v_dual_add_f32 v41, v41, v35
	s_wait_xcnt 0x0
	v_cmpx_gt_i32_e64 v34, v30
	s_cbranch_execz .LBB6_194
; %bb.168:                              ;   in Loop: Header=BB6_153 Depth=2
	v_ashrrev_i32_e32 v35, 31, v34
	s_mov_b32 s68, exec_lo
	s_delay_alu instid0(VALU_DEP_1)
	v_lshl_add_u64 v[38:39], v[34:35], 2, s[40:41]
	global_load_b32 v40, v[38:39], off offset:-4
	s_wait_xcnt 0x0
	v_dual_mov_b32 v38, 0 :: v_dual_mov_b32 v39, 1.0
	s_wait_loadcnt 0x0
	v_cmpx_neq_f32_e32 0, v40
	s_cbranch_execz .LBB6_176
; %bb.169:                              ;   in Loop: Header=BB6_153 Depth=2
	v_dual_mov_b32 v39, 0 :: v_dual_mov_b32 v38, 1.0
	s_mov_b32 s69, exec_lo
	v_cmpx_neq_f32_e32 0, v41
	s_cbranch_execz .LBB6_175
; %bb.170:                              ;   in Loop: Header=BB6_153 Depth=2
	s_mov_b32 s70, exec_lo
                                        ; implicit-def: $vgpr39
	v_cmpx_ngt_f32_e64 |v40|, |v41|
	s_xor_b32 s70, exec_lo, s70
	s_cbranch_execz .LBB6_172
; %bb.171:                              ;   in Loop: Header=BB6_153 Depth=2
	v_div_scale_f32 v6, null, v41, v41, -v40
	v_div_scale_f32 v42, vcc_lo, -v40, v41, -v40
	s_delay_alu instid0(VALU_DEP_2) | instskip(SKIP_1) | instid1(TRANS32_DEP_1)
	v_rcp_f32_e32 v38, v6
	v_nop
	v_fma_f32 v39, -v6, v38, 1.0
	s_delay_alu instid0(VALU_DEP_1) | instskip(NEXT) | instid1(VALU_DEP_1)
	v_fmac_f32_e32 v38, v39, v38
	v_mul_f32_e32 v39, v42, v38
	s_delay_alu instid0(VALU_DEP_1) | instskip(NEXT) | instid1(VALU_DEP_1)
	v_fma_f32 v43, -v6, v39, v42
	v_fmac_f32_e32 v39, v43, v38
	s_delay_alu instid0(VALU_DEP_1) | instskip(NEXT) | instid1(VALU_DEP_1)
	v_fma_f32 v6, -v6, v39, v42
	v_div_fmas_f32 v6, v6, v38, v39
	s_delay_alu instid0(VALU_DEP_1) | instskip(NEXT) | instid1(VALU_DEP_1)
	v_div_fixup_f32 v6, v6, v41, -v40
	v_fma_f32 v38, v6, v6, 1.0
	s_delay_alu instid0(VALU_DEP_1) | instskip(SKIP_1) | instid1(VALU_DEP_2)
	v_mul_f32_e32 v39, 0x4f800000, v38
	v_cmp_gt_f32_e32 vcc_lo, 0xf800000, v38
	v_cndmask_b32_e32 v38, v38, v39, vcc_lo
	s_delay_alu instid0(VALU_DEP_1) | instskip(SKIP_1) | instid1(TRANS32_DEP_1)
	v_sqrt_f32_e32 v39, v38
	v_nop
	v_dual_add_nc_u32 v41, -1, v39 :: v_dual_add_nc_u32 v42, 1, v39
	s_delay_alu instid0(VALU_DEP_1) | instskip(NEXT) | instid1(VALU_DEP_1)
	v_dual_fma_f32 v43, -v41, v39, v38 :: v_dual_fma_f32 v44, -v42, v39, v38
	v_cmp_ge_f32_e64 s3, 0, v43
	s_delay_alu instid0(VALU_DEP_1) | instskip(NEXT) | instid1(VALU_DEP_3)
	v_cndmask_b32_e64 v39, v39, v41, s3
	v_cmp_lt_f32_e64 s3, 0, v44
	s_delay_alu instid0(VALU_DEP_1) | instskip(NEXT) | instid1(VALU_DEP_1)
	v_cndmask_b32_e64 v39, v39, v42, s3
	v_mul_f32_e32 v41, 0x37800000, v39
	s_delay_alu instid0(VALU_DEP_1) | instskip(SKIP_1) | instid1(VALU_DEP_2)
	v_cndmask_b32_e32 v39, v39, v41, vcc_lo
	v_cmp_class_f32_e64 vcc_lo, v38, 0x260
	v_cndmask_b32_e32 v38, v39, v38, vcc_lo
	s_delay_alu instid0(VALU_DEP_1) | instskip(NEXT) | instid1(VALU_DEP_1)
	v_div_scale_f32 v39, null, v38, v38, 1.0
	v_rcp_f32_e32 v41, v39
	v_nop
	s_delay_alu instid0(TRANS32_DEP_1) | instskip(NEXT) | instid1(VALU_DEP_1)
	v_fma_f32 v42, -v39, v41, 1.0
	v_fmac_f32_e32 v41, v42, v41
	v_div_scale_f32 v42, vcc_lo, 1.0, v38, 1.0
	s_delay_alu instid0(VALU_DEP_1) | instskip(NEXT) | instid1(VALU_DEP_1)
	v_mul_f32_e32 v43, v42, v41
	v_fma_f32 v44, -v39, v43, v42
	s_delay_alu instid0(VALU_DEP_1) | instskip(NEXT) | instid1(VALU_DEP_1)
	v_fmac_f32_e32 v43, v44, v41
	v_fma_f32 v39, -v39, v43, v42
	s_delay_alu instid0(VALU_DEP_1) | instskip(NEXT) | instid1(VALU_DEP_1)
	v_div_fmas_f32 v39, v39, v41, v43
                                        ; implicit-def: $vgpr41
	v_div_fixup_f32 v39, v39, v38, 1.0
	s_delay_alu instid0(VALU_DEP_1)
	v_mul_f32_e32 v38, v6, v39
.LBB6_172:                              ;   in Loop: Header=BB6_153 Depth=2
	s_and_not1_saveexec_b32 s70, s70
	s_cbranch_execz .LBB6_174
; %bb.173:                              ;   in Loop: Header=BB6_153 Depth=2
	v_div_scale_f32 v6, null, v40, v40, -v41
	v_div_scale_f32 v42, vcc_lo, -v41, v40, -v41
	s_delay_alu instid0(VALU_DEP_2) | instskip(SKIP_1) | instid1(TRANS32_DEP_1)
	v_rcp_f32_e32 v38, v6
	v_nop
	v_fma_f32 v39, -v6, v38, 1.0
	s_delay_alu instid0(VALU_DEP_1) | instskip(NEXT) | instid1(VALU_DEP_1)
	v_fmac_f32_e32 v38, v39, v38
	v_mul_f32_e32 v39, v42, v38
	s_delay_alu instid0(VALU_DEP_1) | instskip(NEXT) | instid1(VALU_DEP_1)
	v_fma_f32 v43, -v6, v39, v42
	v_fmac_f32_e32 v39, v43, v38
	s_delay_alu instid0(VALU_DEP_1) | instskip(NEXT) | instid1(VALU_DEP_1)
	v_fma_f32 v6, -v6, v39, v42
	v_div_fmas_f32 v6, v6, v38, v39
	s_delay_alu instid0(VALU_DEP_1) | instskip(NEXT) | instid1(VALU_DEP_1)
	v_div_fixup_f32 v6, v6, v40, -v41
	v_fma_f32 v38, v6, v6, 1.0
	s_delay_alu instid0(VALU_DEP_1) | instskip(SKIP_1) | instid1(VALU_DEP_2)
	v_mul_f32_e32 v39, 0x4f800000, v38
	v_cmp_gt_f32_e32 vcc_lo, 0xf800000, v38
	v_cndmask_b32_e32 v38, v38, v39, vcc_lo
	s_delay_alu instid0(VALU_DEP_1) | instskip(SKIP_1) | instid1(TRANS32_DEP_1)
	v_sqrt_f32_e32 v39, v38
	v_nop
	v_dual_add_nc_u32 v41, -1, v39 :: v_dual_add_nc_u32 v42, 1, v39
	s_delay_alu instid0(VALU_DEP_1) | instskip(NEXT) | instid1(VALU_DEP_1)
	v_dual_fma_f32 v43, -v41, v39, v38 :: v_dual_fma_f32 v44, -v42, v39, v38
	v_cmp_ge_f32_e64 s3, 0, v43
	s_delay_alu instid0(VALU_DEP_1) | instskip(NEXT) | instid1(VALU_DEP_3)
	v_cndmask_b32_e64 v39, v39, v41, s3
	v_cmp_lt_f32_e64 s3, 0, v44
	s_delay_alu instid0(VALU_DEP_1) | instskip(NEXT) | instid1(VALU_DEP_1)
	v_cndmask_b32_e64 v39, v39, v42, s3
	v_mul_f32_e32 v41, 0x37800000, v39
	s_delay_alu instid0(VALU_DEP_1) | instskip(SKIP_1) | instid1(VALU_DEP_2)
	v_cndmask_b32_e32 v39, v39, v41, vcc_lo
	v_cmp_class_f32_e64 vcc_lo, v38, 0x260
	v_cndmask_b32_e32 v38, v39, v38, vcc_lo
	s_delay_alu instid0(VALU_DEP_1) | instskip(NEXT) | instid1(VALU_DEP_1)
	v_div_scale_f32 v39, null, v38, v38, 1.0
	v_rcp_f32_e32 v41, v39
	v_nop
	s_delay_alu instid0(TRANS32_DEP_1) | instskip(NEXT) | instid1(VALU_DEP_1)
	v_fma_f32 v42, -v39, v41, 1.0
	v_fmac_f32_e32 v41, v42, v41
	v_div_scale_f32 v42, vcc_lo, 1.0, v38, 1.0
	s_delay_alu instid0(VALU_DEP_1) | instskip(NEXT) | instid1(VALU_DEP_1)
	v_mul_f32_e32 v43, v42, v41
	v_fma_f32 v44, -v39, v43, v42
	s_delay_alu instid0(VALU_DEP_1) | instskip(NEXT) | instid1(VALU_DEP_1)
	v_fmac_f32_e32 v43, v44, v41
	v_fma_f32 v39, -v39, v43, v42
	s_delay_alu instid0(VALU_DEP_1) | instskip(NEXT) | instid1(VALU_DEP_1)
	v_div_fmas_f32 v39, v39, v41, v43
	v_div_fixup_f32 v38, v39, v38, 1.0
	s_delay_alu instid0(VALU_DEP_1)
	v_mul_f32_e32 v39, v6, v38
.LBB6_174:                              ;   in Loop: Header=BB6_153 Depth=2
	s_or_b32 exec_lo, exec_lo, s70
.LBB6_175:                              ;   in Loop: Header=BB6_153 Depth=2
	s_delay_alu instid0(SALU_CYCLE_1)
	s_or_b32 exec_lo, exec_lo, s69
.LBB6_176:                              ;   in Loop: Header=BB6_153 Depth=2
	s_delay_alu instid0(SALU_CYCLE_1)
	s_or_b32 exec_lo, exec_lo, s68
	v_lshl_add_u64 v[44:45], v[34:35], 2, s[18:19]
	v_lshl_add_u64 v[46:47], v[34:35], 2, s[44:45]
	s_mov_b32 s76, exec_lo
	global_load_b32 v6, v[44:45], off offset:-4
	v_add_nc_u64_e32 v[52:53], -4, v[46:47]
	s_delay_alu instid0(VALU_DEP_1) | instskip(SKIP_2) | instid1(VALU_DEP_1)
	v_lshl_add_u64 v[52:53], s[6:7], 2, v[52:53]
	s_wait_loadcnt 0x0
	v_sub_f32_e32 v6, v6, v31
	v_pk_mul_f32 v[42:43], v[38:39], v[6:7]
	s_delay_alu instid0(VALU_DEP_1) | instskip(NEXT) | instid1(VALU_DEP_1)
	v_dual_fma_f32 v35, v40, v43, -v42 :: v_dual_add_nc_u32 v42, -1, v34
	v_dual_mul_f32 v6, v35, -v38 :: v_dual_fma_f32 v31, v35, -v38, v31
	v_fma_f32 v41, v39, v35, -v40
	ds_store_b32 v48, v6 offset:8
	global_store_b32 v[44:45], v31, off
	s_clause 0x1
	global_store_b32 v[46:47], v39, off offset:-4
	global_store_b32 v[52:53], v38, off offset:-4
	s_wait_xcnt 0x0
	v_cmpx_gt_i32_e64 v42, v30
	s_cbranch_execz .LBB6_193
; %bb.177:                              ;   in Loop: Header=BB6_153 Depth=2
	v_ashrrev_i32_e32 v43, 31, v42
	v_xor_b32_e32 v35, 0x80000000, v38
	s_mov_b32 s78, -1
	s_mov_b32 s77, 0
	s_mov_b64 s[68:69], s[58:59]
	v_lshlrev_b64_e32 v[42:43], 2, v[42:43]
	s_mov_b64 s[70:71], s[18:19]
	s_mov_b64 s[72:73], s[56:57]
	;; [unrolled: 1-line block ×3, first 2 shown]
	s_branch .LBB6_179
.LBB6_178:                              ;   in Loop: Header=BB6_179 Depth=3
	s_wait_xcnt 0x0
	v_add_nc_u64_e32 v[44:45], s[70:71], v[42:43]
	s_add_co_i32 s78, s78, -1
	v_add_nc_u64_e32 v[52:53], s[72:73], v[42:43]
	v_xor_b32_e32 v35, 0x80000000, v46
	v_add_nc_u64_e32 v[54:55], s[74:75], v[42:43]
	s_add_nc_u64 s[74:75], s[74:75], -4
	s_add_nc_u64 s[72:73], s[72:73], -4
	global_load_b64 v[40:41], v[44:45], off offset:-4
	s_add_nc_u64 s[70:71], s[70:71], -4
	s_add_nc_u64 s[68:69], s[68:69], -4
	s_wait_loadcnt 0x0
	v_dual_mul_f32 v31, v39, v31 :: v_dual_sub_f32 v41, v41, v6
	s_delay_alu instid0(VALU_DEP_1) | instskip(NEXT) | instid1(VALU_DEP_1)
	v_sub_f32_e32 v6, v40, v41
	v_pk_mul_f32 v[38:39], v[46:47], v[6:7]
	s_delay_alu instid0(VALU_DEP_1) | instskip(SKIP_1) | instid1(VALU_DEP_2)
	v_dual_add_nc_u32 v6, s78, v34 :: v_dual_fma_f32 v38, v31, v39, -v38
	v_mov_b32_e32 v39, v47
	v_cmp_le_i32_e32 vcc_lo, v6, v30
	s_delay_alu instid0(VALU_DEP_3)
	v_dual_fma_f32 v40, v38, -v46, v41 :: v_dual_mul_f32 v6, v38, -v46
	v_fma_f32 v41, v47, v38, -v31
	s_or_b32 s77, vcc_lo, s77
	global_store_b32 v[44:45], v40, off
	global_store_b32 v[52:53], v47, off
	;; [unrolled: 1-line block ×3, first 2 shown]
	s_wait_xcnt 0x0
	s_and_not1_b32 exec_lo, exec_lo, s77
	s_cbranch_execz .LBB6_192
.LBB6_179:                              ;   Parent Loop BB6_7 Depth=1
                                        ;     Parent Loop BB6_153 Depth=2
                                        ; =>    This Inner Loop Header: Depth=3
	s_delay_alu instid0(VALU_DEP_1)
	v_add_nc_u64_e32 v[44:45], s[68:69], v[42:43]
	v_mov_b32_e32 v47, 1.0
	s_mov_b32 s79, exec_lo
	v_mov_b32_e32 v46, 0
	global_load_b32 v31, v[44:45], off
	s_wait_loadcnt 0x0
	v_mul_f32_e32 v40, v35, v31
	s_wait_xcnt 0x0
	s_delay_alu instid0(VALU_DEP_1)
	v_cmpx_neq_f32_e32 0, v40
	s_cbranch_execz .LBB6_189
; %bb.180:                              ;   in Loop: Header=BB6_179 Depth=3
	v_xor_b32_e32 v35, 0x80000000, v40
                                        ; implicit-def: $vgpr47
	s_mov_b32 s3, exec_lo
	v_cmpx_neq_f32_e32 0, v41
	s_xor_b32 s80, exec_lo, s3
	s_cbranch_execz .LBB6_186
; %bb.181:                              ;   in Loop: Header=BB6_179 Depth=3
	s_mov_b32 s81, exec_lo
                                        ; implicit-def: $vgpr47
	v_cmpx_ngt_f32_e64 |v40|, |v41|
	s_xor_b32 s81, exec_lo, s81
	s_cbranch_execz .LBB6_183
; %bb.182:                              ;   in Loop: Header=BB6_179 Depth=3
	v_div_scale_f32 v35, null, v41, v41, -v40
	v_div_scale_f32 v47, vcc_lo, -v40, v41, -v40
	s_delay_alu instid0(VALU_DEP_2) | instskip(SKIP_1) | instid1(TRANS32_DEP_1)
	v_rcp_f32_e32 v38, v35
	v_nop
	v_fma_f32 v46, -v35, v38, 1.0
	s_delay_alu instid0(VALU_DEP_1) | instskip(NEXT) | instid1(VALU_DEP_1)
	v_fmac_f32_e32 v38, v46, v38
	v_mul_f32_e32 v46, v47, v38
	s_delay_alu instid0(VALU_DEP_1) | instskip(NEXT) | instid1(VALU_DEP_1)
	v_fma_f32 v51, -v35, v46, v47
	v_fmac_f32_e32 v46, v51, v38
	s_delay_alu instid0(VALU_DEP_1) | instskip(NEXT) | instid1(VALU_DEP_1)
	v_fma_f32 v35, -v35, v46, v47
	v_div_fmas_f32 v35, v35, v38, v46
	s_delay_alu instid0(VALU_DEP_1) | instskip(NEXT) | instid1(VALU_DEP_1)
	v_div_fixup_f32 v35, v35, v41, -v40
	v_fma_f32 v38, v35, v35, 1.0
	s_delay_alu instid0(VALU_DEP_1) | instskip(SKIP_1) | instid1(VALU_DEP_2)
	v_mul_f32_e32 v46, 0x4f800000, v38
	v_cmp_gt_f32_e32 vcc_lo, 0xf800000, v38
	v_cndmask_b32_e32 v38, v38, v46, vcc_lo
	s_delay_alu instid0(VALU_DEP_1) | instskip(SKIP_1) | instid1(TRANS32_DEP_1)
	v_sqrt_f32_e32 v46, v38
	v_nop
	v_dual_add_nc_u32 v47, -1, v46 :: v_dual_add_nc_u32 v51, 1, v46
	s_delay_alu instid0(VALU_DEP_1) | instskip(NEXT) | instid1(VALU_DEP_2)
	v_fma_f32 v52, -v47, v46, v38
	v_fma_f32 v53, -v51, v46, v38
	s_delay_alu instid0(VALU_DEP_2) | instskip(NEXT) | instid1(VALU_DEP_1)
	v_cmp_ge_f32_e64 s3, 0, v52
	v_cndmask_b32_e64 v46, v46, v47, s3
	s_delay_alu instid0(VALU_DEP_3) | instskip(NEXT) | instid1(VALU_DEP_1)
	v_cmp_lt_f32_e64 s3, 0, v53
	v_cndmask_b32_e64 v46, v46, v51, s3
	s_delay_alu instid0(VALU_DEP_1) | instskip(NEXT) | instid1(VALU_DEP_1)
	v_mul_f32_e32 v47, 0x37800000, v46
	v_cndmask_b32_e32 v46, v46, v47, vcc_lo
	v_cmp_class_f32_e64 vcc_lo, v38, 0x260
	s_delay_alu instid0(VALU_DEP_2) | instskip(NEXT) | instid1(VALU_DEP_1)
	v_cndmask_b32_e32 v38, v46, v38, vcc_lo
	v_div_scale_f32 v46, null, v38, v38, 1.0
	s_delay_alu instid0(VALU_DEP_1) | instskip(SKIP_1) | instid1(TRANS32_DEP_1)
	v_rcp_f32_e32 v47, v46
	v_nop
	v_fma_f32 v51, -v46, v47, 1.0
	s_delay_alu instid0(VALU_DEP_1) | instskip(SKIP_1) | instid1(VALU_DEP_1)
	v_fmac_f32_e32 v47, v51, v47
	v_div_scale_f32 v51, vcc_lo, 1.0, v38, 1.0
	v_mul_f32_e32 v52, v51, v47
	s_delay_alu instid0(VALU_DEP_1) | instskip(NEXT) | instid1(VALU_DEP_1)
	v_fma_f32 v53, -v46, v52, v51
	v_fmac_f32_e32 v52, v53, v47
	s_delay_alu instid0(VALU_DEP_1) | instskip(NEXT) | instid1(VALU_DEP_1)
	v_fma_f32 v46, -v46, v52, v51
	v_div_fmas_f32 v46, v46, v47, v52
	s_delay_alu instid0(VALU_DEP_1) | instskip(NEXT) | instid1(VALU_DEP_1)
	v_div_fixup_f32 v47, v46, v38, 1.0
	v_mul_f32_e32 v46, v35, v47
.LBB6_183:                              ;   in Loop: Header=BB6_179 Depth=3
	s_and_not1_saveexec_b32 s81, s81
	s_cbranch_execz .LBB6_185
; %bb.184:                              ;   in Loop: Header=BB6_179 Depth=3
	v_div_scale_f32 v35, null, v40, v40, -v41
	v_div_scale_f32 v47, vcc_lo, -v41, v40, -v41
	s_delay_alu instid0(VALU_DEP_2) | instskip(SKIP_1) | instid1(TRANS32_DEP_1)
	v_rcp_f32_e32 v38, v35
	v_nop
	v_fma_f32 v46, -v35, v38, 1.0
	s_delay_alu instid0(VALU_DEP_1) | instskip(NEXT) | instid1(VALU_DEP_1)
	v_fmac_f32_e32 v38, v46, v38
	v_mul_f32_e32 v46, v47, v38
	s_delay_alu instid0(VALU_DEP_1) | instskip(NEXT) | instid1(VALU_DEP_1)
	v_fma_f32 v51, -v35, v46, v47
	v_fmac_f32_e32 v46, v51, v38
	s_delay_alu instid0(VALU_DEP_1) | instskip(NEXT) | instid1(VALU_DEP_1)
	v_fma_f32 v35, -v35, v46, v47
	v_div_fmas_f32 v35, v35, v38, v46
	s_delay_alu instid0(VALU_DEP_1) | instskip(NEXT) | instid1(VALU_DEP_1)
	v_div_fixup_f32 v35, v35, v40, -v41
	v_fma_f32 v38, v35, v35, 1.0
	s_delay_alu instid0(VALU_DEP_1) | instskip(SKIP_1) | instid1(VALU_DEP_2)
	v_mul_f32_e32 v46, 0x4f800000, v38
	v_cmp_gt_f32_e32 vcc_lo, 0xf800000, v38
	v_cndmask_b32_e32 v38, v38, v46, vcc_lo
	s_delay_alu instid0(VALU_DEP_1) | instskip(SKIP_1) | instid1(TRANS32_DEP_1)
	v_sqrt_f32_e32 v46, v38
	v_nop
	v_dual_add_nc_u32 v47, -1, v46 :: v_dual_add_nc_u32 v51, 1, v46
	s_delay_alu instid0(VALU_DEP_1) | instskip(NEXT) | instid1(VALU_DEP_2)
	v_fma_f32 v52, -v47, v46, v38
	v_fma_f32 v53, -v51, v46, v38
	s_delay_alu instid0(VALU_DEP_2) | instskip(NEXT) | instid1(VALU_DEP_1)
	v_cmp_ge_f32_e64 s3, 0, v52
	v_cndmask_b32_e64 v46, v46, v47, s3
	s_delay_alu instid0(VALU_DEP_3) | instskip(NEXT) | instid1(VALU_DEP_1)
	v_cmp_lt_f32_e64 s3, 0, v53
	v_cndmask_b32_e64 v46, v46, v51, s3
	s_delay_alu instid0(VALU_DEP_1) | instskip(NEXT) | instid1(VALU_DEP_1)
	v_mul_f32_e32 v47, 0x37800000, v46
	v_cndmask_b32_e32 v46, v46, v47, vcc_lo
	v_cmp_class_f32_e64 vcc_lo, v38, 0x260
	s_delay_alu instid0(VALU_DEP_2) | instskip(NEXT) | instid1(VALU_DEP_1)
	v_cndmask_b32_e32 v38, v46, v38, vcc_lo
	v_div_scale_f32 v46, null, v38, v38, 1.0
	s_delay_alu instid0(VALU_DEP_1) | instskip(SKIP_1) | instid1(TRANS32_DEP_1)
	v_rcp_f32_e32 v47, v46
	v_nop
	v_fma_f32 v51, -v46, v47, 1.0
	s_delay_alu instid0(VALU_DEP_1) | instskip(SKIP_1) | instid1(VALU_DEP_1)
	v_fmac_f32_e32 v47, v51, v47
	v_div_scale_f32 v51, vcc_lo, 1.0, v38, 1.0
	v_mul_f32_e32 v52, v51, v47
	s_delay_alu instid0(VALU_DEP_1) | instskip(NEXT) | instid1(VALU_DEP_1)
	v_fma_f32 v53, -v46, v52, v51
	v_fmac_f32_e32 v52, v53, v47
	s_delay_alu instid0(VALU_DEP_1) | instskip(NEXT) | instid1(VALU_DEP_1)
	v_fma_f32 v46, -v46, v52, v51
	v_div_fmas_f32 v46, v46, v47, v52
	s_delay_alu instid0(VALU_DEP_1) | instskip(NEXT) | instid1(VALU_DEP_1)
	v_div_fixup_f32 v46, v46, v38, 1.0
	v_mul_f32_e32 v47, v35, v46
.LBB6_185:                              ;   in Loop: Header=BB6_179 Depth=3
	s_or_b32 exec_lo, exec_lo, s81
	s_delay_alu instid0(VALU_DEP_1) | instskip(NEXT) | instid1(VALU_DEP_1)
	v_pk_mul_f32 v[40:41], v[40:41], v[46:47]
	v_sub_f32_e32 v35, v41, v40
.LBB6_186:                              ;   in Loop: Header=BB6_179 Depth=3
	s_and_not1_saveexec_b32 s3, s80
; %bb.187:                              ;   in Loop: Header=BB6_179 Depth=3
	v_dual_mov_b32 v46, 1.0 :: v_dual_mov_b32 v47, 0
; %bb.188:                              ;   in Loop: Header=BB6_179 Depth=3
	s_or_b32 exec_lo, exec_lo, s3
	s_delay_alu instid0(VALU_DEP_2)
	v_mov_b32_e32 v41, v35
.LBB6_189:                              ;   in Loop: Header=BB6_179 Depth=3
	s_or_b32 exec_lo, exec_lo, s79
	s_cmp_eq_u32 s78, 0
	s_cbranch_scc1 .LBB6_178
; %bb.190:                              ;   in Loop: Header=BB6_179 Depth=3
	global_store_b32 v[44:45], v41, off offset:4
	s_branch .LBB6_178
.LBB6_191:                              ;   in Loop: Header=BB6_153 Depth=2
	ds_store_2addr_b32 v48, v34, v30 offset0:1 offset1:4
	s_cbranch_execz .LBB6_164
	s_branch .LBB6_165
.LBB6_192:                              ;   in Loop: Header=BB6_153 Depth=2
	s_or_b32 exec_lo, exec_lo, s77
	ds_store_b32 v48, v6 offset:8
.LBB6_193:                              ;   in Loop: Header=BB6_153 Depth=2
	s_or_b32 exec_lo, exec_lo, s76
	global_load_b32 v38, v[32:33], off
.LBB6_194:                              ;   in Loop: Header=BB6_153 Depth=2
	s_wait_xcnt 0x0
	s_or_b32 exec_lo, exec_lo, s35
	s_wait_loadcnt 0x0
	v_sub_f32_e32 v6, v38, v6
                                        ; implicit-def: $vgpr30
                                        ; implicit-def: $vgpr38
	global_store_b32 v[32:33], v6, off
	global_store_b32 v[36:37], v41, off
                                        ; implicit-def: $vgpr36_vgpr37
                                        ; implicit-def: $vgpr32_vgpr33
.LBB6_195:                              ;   in Loop: Header=BB6_153 Depth=2
	s_wait_xcnt 0x0
	s_and_not1_saveexec_b32 s35, s4
	s_cbranch_execz .LBB6_228
; %bb.196:                              ;   in Loop: Header=BB6_153 Depth=2
	v_lshl_add_u64 v[34:35], v[36:37], 2, s[40:41]
	s_mov_b32 s4, exec_lo
                                        ; implicit-def: $vgpr6
	global_load_b32 v41, v[34:35], off
	global_load_b32 v39, v[32:33], off offset:4
	s_wait_loadcnt 0x0
	v_dual_add_f32 v31, v41, v41 :: v_dual_sub_f32 v40, v38, v39
	s_delay_alu instid0(VALU_DEP_1) | instskip(SKIP_1) | instid1(VALU_DEP_2)
	v_and_b32_e32 v42, 0x7fffffff, v31
	s_wait_xcnt 0x0
	v_cmpx_ngt_f32_e64 |v40|, |v31|
	s_xor_b32 s4, exec_lo, s4
	s_cbranch_execz .LBB6_202
; %bb.197:                              ;   in Loop: Header=BB6_153 Depth=2
	v_cmp_nlt_f32_e64 s3, |v40|, |v31|
                                        ; implicit-def: $vgpr6
	s_and_saveexec_b32 s68, s3
	s_delay_alu instid0(SALU_CYCLE_1)
	s_xor_b32 s3, exec_lo, s68
	s_cbranch_execz .LBB6_199
; %bb.198:                              ;   in Loop: Header=BB6_153 Depth=2
	v_cvt_f64_f32_e32 v[42:43], v42
	s_delay_alu instid0(VALU_DEP_1) | instskip(NEXT) | instid1(VALU_DEP_1)
	v_mul_f64_e32 v[42:43], 0x3ff6a09e667f3bcd, v[42:43]
	v_cvt_f32_f64_e32 v6, v[42:43]
                                        ; implicit-def: $vgpr42
.LBB6_199:                              ;   in Loop: Header=BB6_153 Depth=2
	s_and_not1_saveexec_b32 s68, s3
	s_cbranch_execz .LBB6_201
; %bb.200:                              ;   in Loop: Header=BB6_153 Depth=2
	v_and_b32_e32 v6, 0x7fffffff, v40
	s_delay_alu instid0(VALU_DEP_1) | instskip(SKIP_1) | instid1(VALU_DEP_2)
	v_div_scale_f32 v43, null, v42, v42, v6
	v_div_scale_f32 v6, vcc_lo, v6, v42, v6
	v_rcp_f32_e32 v44, v43
	v_nop
	s_delay_alu instid0(TRANS32_DEP_1) | instskip(NEXT) | instid1(VALU_DEP_1)
	v_fma_f32 v45, -v43, v44, 1.0
	v_fmac_f32_e32 v44, v45, v44
	s_delay_alu instid0(VALU_DEP_1) | instskip(NEXT) | instid1(VALU_DEP_1)
	v_mul_f32_e32 v42, v6, v44
	v_fma_f32 v45, -v43, v42, v6
	s_delay_alu instid0(VALU_DEP_1) | instskip(NEXT) | instid1(VALU_DEP_1)
	v_fmac_f32_e32 v42, v45, v44
	v_fma_f32 v6, -v43, v42, v6
	s_delay_alu instid0(VALU_DEP_1) | instskip(NEXT) | instid1(VALU_DEP_1)
	v_div_fmas_f32 v6, v6, v44, v42
	v_div_fixup_f32 v6, v6, |v31|, |v40|
	s_delay_alu instid0(VALU_DEP_1) | instskip(NEXT) | instid1(VALU_DEP_1)
	v_fma_f32 v6, v6, v6, 1.0
	v_mul_f32_e32 v42, 0x4f800000, v6
	v_cmp_gt_f32_e32 vcc_lo, 0xf800000, v6
	s_delay_alu instid0(VALU_DEP_2) | instskip(NEXT) | instid1(VALU_DEP_1)
	v_cndmask_b32_e32 v6, v6, v42, vcc_lo
	v_sqrt_f32_e32 v42, v6
	v_nop
	s_delay_alu instid0(TRANS32_DEP_1) | instskip(NEXT) | instid1(VALU_DEP_1)
	v_dual_add_nc_u32 v43, -1, v42 :: v_dual_add_nc_u32 v44, 1, v42
	v_dual_fma_f32 v45, -v43, v42, v6 :: v_dual_fma_f32 v46, -v44, v42, v6
	s_delay_alu instid0(VALU_DEP_1) | instskip(NEXT) | instid1(VALU_DEP_1)
	v_cmp_ge_f32_e64 s3, 0, v45
	v_cndmask_b32_e64 v42, v42, v43, s3
	s_delay_alu instid0(VALU_DEP_3) | instskip(NEXT) | instid1(VALU_DEP_1)
	v_cmp_lt_f32_e64 s3, 0, v46
	v_cndmask_b32_e64 v42, v42, v44, s3
	s_delay_alu instid0(VALU_DEP_1) | instskip(NEXT) | instid1(VALU_DEP_1)
	v_mul_f32_e32 v43, 0x37800000, v42
	v_cndmask_b32_e32 v42, v42, v43, vcc_lo
	v_cmp_class_f32_e64 vcc_lo, v6, 0x260
	s_delay_alu instid0(VALU_DEP_2) | instskip(NEXT) | instid1(VALU_DEP_1)
	v_cndmask_b32_e32 v6, v42, v6, vcc_lo
	v_mul_f32_e64 v6, |v31|, v6
.LBB6_201:                              ;   in Loop: Header=BB6_153 Depth=2
	s_or_b32 exec_lo, exec_lo, s68
                                        ; implicit-def: $vgpr42
.LBB6_202:                              ;   in Loop: Header=BB6_153 Depth=2
	s_and_not1_saveexec_b32 s4, s4
	s_cbranch_execz .LBB6_204
; %bb.203:                              ;   in Loop: Header=BB6_153 Depth=2
	v_and_b32_e32 v6, 0x7fffffff, v40
	s_delay_alu instid0(VALU_DEP_1) | instskip(SKIP_1) | instid1(VALU_DEP_2)
	v_div_scale_f32 v43, null, v6, v6, v42
	v_div_scale_f32 v6, vcc_lo, v42, v6, v42
	v_rcp_f32_e32 v44, v43
	v_nop
	s_delay_alu instid0(TRANS32_DEP_1) | instskip(NEXT) | instid1(VALU_DEP_1)
	v_fma_f32 v45, -v43, v44, 1.0
	v_fmac_f32_e32 v44, v45, v44
	s_delay_alu instid0(VALU_DEP_1) | instskip(NEXT) | instid1(VALU_DEP_1)
	v_mul_f32_e32 v42, v6, v44
	v_fma_f32 v45, -v43, v42, v6
	s_delay_alu instid0(VALU_DEP_1) | instskip(NEXT) | instid1(VALU_DEP_1)
	v_fmac_f32_e32 v42, v45, v44
	v_fma_f32 v6, -v43, v42, v6
	s_delay_alu instid0(VALU_DEP_1) | instskip(NEXT) | instid1(VALU_DEP_1)
	v_div_fmas_f32 v6, v6, v44, v42
	v_div_fixup_f32 v6, v6, |v40|, |v31|
	s_delay_alu instid0(VALU_DEP_1) | instskip(NEXT) | instid1(VALU_DEP_1)
	v_fma_f32 v6, v6, v6, 1.0
	v_mul_f32_e32 v42, 0x4f800000, v6
	v_cmp_gt_f32_e32 vcc_lo, 0xf800000, v6
	s_delay_alu instid0(VALU_DEP_2) | instskip(NEXT) | instid1(VALU_DEP_1)
	v_cndmask_b32_e32 v6, v6, v42, vcc_lo
	v_sqrt_f32_e32 v42, v6
	v_nop
	s_delay_alu instid0(TRANS32_DEP_1) | instskip(NEXT) | instid1(VALU_DEP_1)
	v_dual_add_nc_u32 v43, -1, v42 :: v_dual_add_nc_u32 v44, 1, v42
	v_dual_fma_f32 v45, -v43, v42, v6 :: v_dual_fma_f32 v46, -v44, v42, v6
	s_delay_alu instid0(VALU_DEP_1) | instskip(NEXT) | instid1(VALU_DEP_1)
	v_cmp_ge_f32_e64 s3, 0, v45
	v_cndmask_b32_e64 v42, v42, v43, s3
	s_delay_alu instid0(VALU_DEP_3) | instskip(NEXT) | instid1(VALU_DEP_1)
	v_cmp_lt_f32_e64 s3, 0, v46
	v_cndmask_b32_e64 v42, v42, v44, s3
	s_delay_alu instid0(VALU_DEP_1) | instskip(NEXT) | instid1(VALU_DEP_1)
	v_mul_f32_e32 v43, 0x37800000, v42
	v_cndmask_b32_e32 v42, v42, v43, vcc_lo
	v_cmp_class_f32_e64 vcc_lo, v6, 0x260
	s_delay_alu instid0(VALU_DEP_2) | instskip(NEXT) | instid1(VALU_DEP_1)
	v_cndmask_b32_e32 v6, v42, v6, vcc_lo
	v_mul_f32_e64 v6, |v40|, v6
.LBB6_204:                              ;   in Loop: Header=BB6_153 Depth=2
	s_or_b32 exec_lo, exec_lo, s4
	v_cmp_gt_f32_e64 vcc_lo, |v38|, |v39|
	v_add_f32_e32 v44, v38, v39
	s_mov_b32 s3, exec_lo
	v_dual_cndmask_b32 v43, v38, v39, vcc_lo :: v_dual_cndmask_b32 v45, v39, v38, vcc_lo
                                        ; implicit-def: $vgpr38_vgpr39
	s_delay_alu instid0(VALU_DEP_2)
	v_cmpx_ngt_f32_e32 0, v44
	s_xor_b32 s3, exec_lo, s3
	s_cbranch_execz .LBB6_210
; %bb.205:                              ;   in Loop: Header=BB6_153 Depth=2
	s_mov_b32 s4, exec_lo
                                        ; implicit-def: $vgpr38_vgpr39
	v_cmpx_nlt_f32_e32 0, v44
	s_xor_b32 s4, exec_lo, s4
; %bb.206:                              ;   in Loop: Header=BB6_153 Depth=2
	v_pk_mul_f32 v[38:39], v[6:7], v[4:5] op_sel_hi:[0,1]
                                        ; implicit-def: $vgpr44
                                        ; implicit-def: $vgpr45
                                        ; implicit-def: $vgpr43
                                        ; implicit-def: $vgpr41
; %bb.207:                              ;   in Loop: Header=BB6_153 Depth=2
	s_and_not1_saveexec_b32 s4, s4
	s_cbranch_execz .LBB6_209
; %bb.208:                              ;   in Loop: Header=BB6_153 Depth=2
	v_add_f32_e32 v38, v44, v6
	v_cvt_f64_f32_e32 v[44:45], v45
	v_cvt_f64_f32_e32 v[42:43], v43
	s_delay_alu instid0(VALU_DEP_3) | instskip(NEXT) | instid1(VALU_DEP_1)
	v_mul_f32_e32 v38, 0.5, v38
	v_cvt_f64_f32_e32 v[46:47], v38
	s_delay_alu instid0(VALU_DEP_1) | instskip(NEXT) | instid1(VALU_DEP_1)
	v_div_scale_f64 v[52:53], null, v[46:47], v[46:47], v[44:45]
	v_rcp_f64_e32 v[54:55], v[52:53]
	v_nop
	s_delay_alu instid0(TRANS32_DEP_1) | instskip(NEXT) | instid1(VALU_DEP_1)
	v_fma_f64 v[56:57], -v[52:53], v[54:55], 1.0
	v_fmac_f64_e32 v[54:55], v[54:55], v[56:57]
	s_delay_alu instid0(VALU_DEP_1) | instskip(NEXT) | instid1(VALU_DEP_1)
	v_fma_f64 v[56:57], -v[52:53], v[54:55], 1.0
	v_fmac_f64_e32 v[54:55], v[54:55], v[56:57]
	v_div_scale_f64 v[56:57], vcc_lo, v[44:45], v[46:47], v[44:45]
	s_delay_alu instid0(VALU_DEP_1) | instskip(NEXT) | instid1(VALU_DEP_1)
	v_mul_f64_e32 v[58:59], v[56:57], v[54:55]
	v_fma_f64 v[52:53], -v[52:53], v[58:59], v[56:57]
	s_delay_alu instid0(VALU_DEP_1) | instskip(NEXT) | instid1(VALU_DEP_1)
	v_div_fmas_f64 v[52:53], v[52:53], v[54:55], v[58:59]
	v_div_fixup_f64 v[44:45], v[52:53], v[46:47], v[44:45]
	v_cvt_f64_f32_e32 v[52:53], v41
	s_delay_alu instid0(VALU_DEP_1) | instskip(NEXT) | instid1(VALU_DEP_1)
	v_div_scale_f64 v[54:55], null, v[46:47], v[46:47], v[52:53]
	v_rcp_f64_e32 v[56:57], v[54:55]
	v_nop
	s_delay_alu instid0(TRANS32_DEP_1) | instskip(NEXT) | instid1(VALU_DEP_1)
	v_fma_f64 v[58:59], -v[54:55], v[56:57], 1.0
	v_fmac_f64_e32 v[56:57], v[56:57], v[58:59]
	s_delay_alu instid0(VALU_DEP_1) | instskip(NEXT) | instid1(VALU_DEP_1)
	v_fma_f64 v[58:59], -v[54:55], v[56:57], 1.0
	v_fmac_f64_e32 v[56:57], v[56:57], v[58:59]
	v_div_scale_f64 v[58:59], vcc_lo, v[52:53], v[46:47], v[52:53]
	s_delay_alu instid0(VALU_DEP_1) | instskip(NEXT) | instid1(VALU_DEP_1)
	v_mul_f64_e32 v[60:61], v[58:59], v[56:57]
	v_fma_f64 v[54:55], -v[54:55], v[60:61], v[58:59]
	s_delay_alu instid0(VALU_DEP_1) | instskip(NEXT) | instid1(VALU_DEP_1)
	v_div_fmas_f64 v[54:55], v[54:55], v[56:57], v[60:61]
	v_div_fixup_f64 v[46:47], v[54:55], v[46:47], v[52:53]
	s_delay_alu instid0(VALU_DEP_1) | instskip(NEXT) | instid1(VALU_DEP_1)
	v_mul_f64_e32 v[46:47], v[46:47], v[52:53]
	v_fma_f64 v[42:43], v[44:45], v[42:43], -v[46:47]
	s_delay_alu instid0(VALU_DEP_1)
	v_cvt_f32_f64_e32 v39, v[42:43]
.LBB6_209:                              ;   in Loop: Header=BB6_153 Depth=2
	s_or_b32 exec_lo, exec_lo, s4
                                        ; implicit-def: $vgpr44
                                        ; implicit-def: $vgpr45
                                        ; implicit-def: $vgpr43
                                        ; implicit-def: $vgpr41
.LBB6_210:                              ;   in Loop: Header=BB6_153 Depth=2
	s_or_saveexec_b32 s3, s3
	v_mov_b32_e32 v42, 1
	s_xor_b32 exec_lo, exec_lo, s3
	s_cbranch_execz .LBB6_212
; %bb.211:                              ;   in Loop: Header=BB6_153 Depth=2
	v_sub_f32_e32 v38, v44, v6
	v_cvt_f64_f32_e32 v[44:45], v45
	v_cvt_f64_f32_e32 v[42:43], v43
	s_delay_alu instid0(VALU_DEP_3) | instskip(NEXT) | instid1(VALU_DEP_1)
	v_mul_f32_e32 v38, 0.5, v38
	v_cvt_f64_f32_e32 v[46:47], v38
	s_delay_alu instid0(VALU_DEP_1) | instskip(NEXT) | instid1(VALU_DEP_1)
	v_div_scale_f64 v[52:53], null, v[46:47], v[46:47], v[44:45]
	v_rcp_f64_e32 v[54:55], v[52:53]
	v_nop
	s_delay_alu instid0(TRANS32_DEP_1) | instskip(NEXT) | instid1(VALU_DEP_1)
	v_fma_f64 v[56:57], -v[52:53], v[54:55], 1.0
	v_fmac_f64_e32 v[54:55], v[54:55], v[56:57]
	s_delay_alu instid0(VALU_DEP_1) | instskip(NEXT) | instid1(VALU_DEP_1)
	v_fma_f64 v[56:57], -v[52:53], v[54:55], 1.0
	v_fmac_f64_e32 v[54:55], v[54:55], v[56:57]
	v_div_scale_f64 v[56:57], vcc_lo, v[44:45], v[46:47], v[44:45]
	s_delay_alu instid0(VALU_DEP_1) | instskip(NEXT) | instid1(VALU_DEP_1)
	v_mul_f64_e32 v[58:59], v[56:57], v[54:55]
	v_fma_f64 v[52:53], -v[52:53], v[58:59], v[56:57]
	s_delay_alu instid0(VALU_DEP_1) | instskip(NEXT) | instid1(VALU_DEP_1)
	v_div_fmas_f64 v[52:53], v[52:53], v[54:55], v[58:59]
	v_div_fixup_f64 v[44:45], v[52:53], v[46:47], v[44:45]
	v_cvt_f64_f32_e32 v[52:53], v41
	s_delay_alu instid0(VALU_DEP_1) | instskip(NEXT) | instid1(VALU_DEP_1)
	v_div_scale_f64 v[54:55], null, v[46:47], v[46:47], v[52:53]
	v_rcp_f64_e32 v[56:57], v[54:55]
	v_nop
	s_delay_alu instid0(TRANS32_DEP_1) | instskip(NEXT) | instid1(VALU_DEP_1)
	v_fma_f64 v[58:59], -v[54:55], v[56:57], 1.0
	v_fmac_f64_e32 v[56:57], v[56:57], v[58:59]
	s_delay_alu instid0(VALU_DEP_1) | instskip(NEXT) | instid1(VALU_DEP_1)
	v_fma_f64 v[58:59], -v[54:55], v[56:57], 1.0
	v_fmac_f64_e32 v[56:57], v[56:57], v[58:59]
	v_div_scale_f64 v[58:59], vcc_lo, v[52:53], v[46:47], v[52:53]
	s_delay_alu instid0(VALU_DEP_1) | instskip(NEXT) | instid1(VALU_DEP_1)
	v_mul_f64_e32 v[60:61], v[58:59], v[56:57]
	v_fma_f64 v[54:55], -v[54:55], v[60:61], v[58:59]
	s_delay_alu instid0(VALU_DEP_1) | instskip(NEXT) | instid1(VALU_DEP_1)
	v_div_fmas_f64 v[54:55], v[54:55], v[56:57], v[60:61]
	v_div_fixup_f64 v[46:47], v[54:55], v[46:47], v[52:53]
	s_delay_alu instid0(VALU_DEP_1) | instskip(NEXT) | instid1(VALU_DEP_1)
	v_mul_f64_e32 v[46:47], v[46:47], v[52:53]
	v_fma_f64 v[42:43], v[44:45], v[42:43], -v[46:47]
	s_delay_alu instid0(VALU_DEP_1)
	v_cvt_f32_f64_e32 v39, v[42:43]
	v_mov_b32_e32 v42, -1
.LBB6_212:                              ;   in Loop: Header=BB6_153 Depth=2
	s_or_b32 exec_lo, exec_lo, s3
	v_cmp_nle_f32_e64 s3, 0, v40
	s_mov_b32 s68, exec_lo
                                        ; implicit-def: $vgpr41
	v_cndmask_b32_e64 v6, v6, -v6, s3
	s_delay_alu instid0(VALU_DEP_1) | instskip(NEXT) | instid1(VALU_DEP_1)
	v_add_f32_e32 v6, v40, v6
                                        ; implicit-def: $vgpr40
	v_cmpx_ngt_f32_e64 |v6|, |v31|
	s_xor_b32 s68, exec_lo, s68
	s_cbranch_execz .LBB6_216
; %bb.213:                              ;   in Loop: Header=BB6_153 Depth=2
	v_dual_mov_b32 v40, 0 :: v_dual_mov_b32 v41, 1.0
	s_mov_b32 s69, exec_lo
	v_cmpx_neq_f32_e32 0, v31
	s_cbranch_execz .LBB6_215
; %bb.214:                              ;   in Loop: Header=BB6_153 Depth=2
	v_div_scale_f32 v40, null, v31, v31, -v6
	v_div_scale_f32 v44, vcc_lo, -v6, v31, -v6
	s_delay_alu instid0(VALU_DEP_2) | instskip(SKIP_1) | instid1(TRANS32_DEP_1)
	v_rcp_f32_e32 v41, v40
	v_nop
	v_fma_f32 v43, -v40, v41, 1.0
	s_delay_alu instid0(VALU_DEP_1) | instskip(NEXT) | instid1(VALU_DEP_1)
	v_fmac_f32_e32 v41, v43, v41
	v_mul_f32_e32 v43, v44, v41
	s_delay_alu instid0(VALU_DEP_1) | instskip(NEXT) | instid1(VALU_DEP_1)
	v_fma_f32 v45, -v40, v43, v44
	v_fmac_f32_e32 v43, v45, v41
	s_delay_alu instid0(VALU_DEP_1) | instskip(NEXT) | instid1(VALU_DEP_1)
	v_fma_f32 v40, -v40, v43, v44
	v_div_fmas_f32 v40, v40, v41, v43
	s_delay_alu instid0(VALU_DEP_1) | instskip(NEXT) | instid1(VALU_DEP_1)
	v_div_fixup_f32 v6, v40, v31, -v6
	v_fma_f32 v31, v6, v6, 1.0
	s_delay_alu instid0(VALU_DEP_1) | instskip(SKIP_1) | instid1(VALU_DEP_2)
	v_mul_f32_e32 v40, 0x4f800000, v31
	v_cmp_gt_f32_e32 vcc_lo, 0xf800000, v31
	v_cndmask_b32_e32 v31, v31, v40, vcc_lo
	s_delay_alu instid0(VALU_DEP_1) | instskip(SKIP_1) | instid1(TRANS32_DEP_1)
	v_sqrt_f32_e32 v40, v31
	v_nop
	v_dual_add_nc_u32 v41, -1, v40 :: v_dual_add_nc_u32 v43, 1, v40
	s_delay_alu instid0(VALU_DEP_1) | instskip(NEXT) | instid1(VALU_DEP_1)
	v_dual_fma_f32 v44, -v41, v40, v31 :: v_dual_fma_f32 v45, -v43, v40, v31
	v_cmp_ge_f32_e64 s4, 0, v44
	s_delay_alu instid0(VALU_DEP_1) | instskip(NEXT) | instid1(VALU_DEP_3)
	v_cndmask_b32_e64 v40, v40, v41, s4
	v_cmp_lt_f32_e64 s4, 0, v45
	s_delay_alu instid0(VALU_DEP_1) | instskip(NEXT) | instid1(VALU_DEP_1)
	v_cndmask_b32_e64 v40, v40, v43, s4
	v_mul_f32_e32 v41, 0x37800000, v40
	s_delay_alu instid0(VALU_DEP_1) | instskip(SKIP_1) | instid1(VALU_DEP_2)
	v_cndmask_b32_e32 v40, v40, v41, vcc_lo
	v_cmp_class_f32_e64 vcc_lo, v31, 0x260
	v_cndmask_b32_e32 v31, v40, v31, vcc_lo
	s_delay_alu instid0(VALU_DEP_1) | instskip(NEXT) | instid1(VALU_DEP_1)
	v_div_scale_f32 v40, null, v31, v31, 1.0
	v_rcp_f32_e32 v41, v40
	v_nop
	s_delay_alu instid0(TRANS32_DEP_1) | instskip(NEXT) | instid1(VALU_DEP_1)
	v_fma_f32 v43, -v40, v41, 1.0
	v_fmac_f32_e32 v41, v43, v41
	v_div_scale_f32 v43, vcc_lo, 1.0, v31, 1.0
	s_delay_alu instid0(VALU_DEP_1) | instskip(NEXT) | instid1(VALU_DEP_1)
	v_mul_f32_e32 v44, v43, v41
	v_fma_f32 v45, -v40, v44, v43
	s_delay_alu instid0(VALU_DEP_1) | instskip(NEXT) | instid1(VALU_DEP_1)
	v_fmac_f32_e32 v44, v45, v41
	v_fma_f32 v40, -v40, v44, v43
	s_delay_alu instid0(VALU_DEP_1) | instskip(NEXT) | instid1(VALU_DEP_1)
	v_div_fmas_f32 v40, v40, v41, v44
	v_div_fixup_f32 v41, v40, v31, 1.0
	s_delay_alu instid0(VALU_DEP_1)
	v_mul_f32_e32 v40, v6, v41
.LBB6_215:                              ;   in Loop: Header=BB6_153 Depth=2
	s_or_b32 exec_lo, exec_lo, s69
                                        ; implicit-def: $vgpr6
                                        ; implicit-def: $vgpr31
.LBB6_216:                              ;   in Loop: Header=BB6_153 Depth=2
	s_and_not1_saveexec_b32 s68, s68
	s_cbranch_execz .LBB6_218
; %bb.217:                              ;   in Loop: Header=BB6_153 Depth=2
	v_div_scale_f32 v40, null, v6, v6, -v31
	v_div_scale_f32 v44, vcc_lo, -v31, v6, -v31
	s_delay_alu instid0(VALU_DEP_2) | instskip(SKIP_1) | instid1(TRANS32_DEP_1)
	v_rcp_f32_e32 v41, v40
	v_nop
	v_fma_f32 v43, -v40, v41, 1.0
	s_delay_alu instid0(VALU_DEP_1) | instskip(NEXT) | instid1(VALU_DEP_1)
	v_fmac_f32_e32 v41, v43, v41
	v_mul_f32_e32 v43, v44, v41
	s_delay_alu instid0(VALU_DEP_1) | instskip(NEXT) | instid1(VALU_DEP_1)
	v_fma_f32 v45, -v40, v43, v44
	v_fmac_f32_e32 v43, v45, v41
	s_delay_alu instid0(VALU_DEP_1) | instskip(NEXT) | instid1(VALU_DEP_1)
	v_fma_f32 v40, -v40, v43, v44
	v_div_fmas_f32 v40, v40, v41, v43
	s_delay_alu instid0(VALU_DEP_1) | instskip(NEXT) | instid1(VALU_DEP_1)
	v_div_fixup_f32 v6, v40, v6, -v31
	v_fma_f32 v31, v6, v6, 1.0
	s_delay_alu instid0(VALU_DEP_1) | instskip(SKIP_1) | instid1(VALU_DEP_2)
	v_mul_f32_e32 v40, 0x4f800000, v31
	v_cmp_gt_f32_e32 vcc_lo, 0xf800000, v31
	v_cndmask_b32_e32 v31, v31, v40, vcc_lo
	s_delay_alu instid0(VALU_DEP_1) | instskip(SKIP_1) | instid1(TRANS32_DEP_1)
	v_sqrt_f32_e32 v40, v31
	v_nop
	v_dual_add_nc_u32 v41, -1, v40 :: v_dual_add_nc_u32 v43, 1, v40
	s_delay_alu instid0(VALU_DEP_1) | instskip(NEXT) | instid1(VALU_DEP_1)
	v_dual_fma_f32 v44, -v41, v40, v31 :: v_dual_fma_f32 v45, -v43, v40, v31
	v_cmp_ge_f32_e64 s4, 0, v44
	s_delay_alu instid0(VALU_DEP_1) | instskip(NEXT) | instid1(VALU_DEP_3)
	v_cndmask_b32_e64 v40, v40, v41, s4
	v_cmp_lt_f32_e64 s4, 0, v45
	s_delay_alu instid0(VALU_DEP_1) | instskip(NEXT) | instid1(VALU_DEP_1)
	v_cndmask_b32_e64 v40, v40, v43, s4
	v_mul_f32_e32 v41, 0x37800000, v40
	s_delay_alu instid0(VALU_DEP_1) | instskip(SKIP_1) | instid1(VALU_DEP_2)
	v_cndmask_b32_e32 v40, v40, v41, vcc_lo
	v_cmp_class_f32_e64 vcc_lo, v31, 0x260
	v_cndmask_b32_e32 v31, v40, v31, vcc_lo
	s_delay_alu instid0(VALU_DEP_1) | instskip(NEXT) | instid1(VALU_DEP_1)
	v_div_scale_f32 v40, null, v31, v31, 1.0
	v_rcp_f32_e32 v41, v40
	v_nop
	s_delay_alu instid0(TRANS32_DEP_1) | instskip(NEXT) | instid1(VALU_DEP_1)
	v_fma_f32 v43, -v40, v41, 1.0
	v_fmac_f32_e32 v41, v43, v41
	v_div_scale_f32 v43, vcc_lo, 1.0, v31, 1.0
	s_delay_alu instid0(VALU_DEP_1) | instskip(NEXT) | instid1(VALU_DEP_1)
	v_mul_f32_e32 v44, v43, v41
	v_fma_f32 v45, -v40, v44, v43
	s_delay_alu instid0(VALU_DEP_1) | instskip(NEXT) | instid1(VALU_DEP_1)
	v_fmac_f32_e32 v44, v45, v41
	v_fma_f32 v40, -v40, v44, v43
	s_delay_alu instid0(VALU_DEP_1) | instskip(NEXT) | instid1(VALU_DEP_1)
	v_div_fmas_f32 v40, v40, v41, v44
	v_div_fixup_f32 v40, v40, v31, 1.0
	s_delay_alu instid0(VALU_DEP_1)
	v_mul_f32_e32 v41, v6, v40
.LBB6_218:                              ;   in Loop: Header=BB6_153 Depth=2
	s_or_b32 exec_lo, exec_lo, s68
	v_cndmask_b32_e64 v6, 1, -1, s3
	v_lshl_add_u64 v[36:37], v[36:37], 2, s[44:45]
	v_add_nc_u32_e32 v30, 2, v30
	s_delay_alu instid0(VALU_DEP_3) | instskip(SKIP_1) | instid1(VALU_DEP_4)
	v_cmp_eq_u32_e32 vcc_lo, v42, v6
	v_dual_cndmask_b32 v6, v40, v41, vcc_lo :: v_dual_cndmask_b32 v31, v41, -v40, vcc_lo
	v_lshl_add_u64 v[40:41], s[6:7], 2, v[36:37]
	s_clause 0x1
	global_store_b32 v[36:37], v31, off
	global_store_b32 v[40:41], v6, off offset:-4
	global_store_b64 v[32:33], v[38:39], off
	global_store_b32 v[34:35], v48, off
	ds_store_b32 v48, v30
	s_wait_xcnt 0x0
	s_or_b32 exec_lo, exec_lo, s35
                                        ; implicit-def: $vgpr6
.LBB6_219:                              ;   in Loop: Header=BB6_153 Depth=2
	s_and_not1_saveexec_b32 s3, s33
.LBB6_220:                              ;   in Loop: Header=BB6_153 Depth=2
	ds_store_b32 v48, v6
.LBB6_221:                              ;   in Loop: Header=BB6_153 Depth=2
	s_or_b32 exec_lo, exec_lo, s3
.LBB6_222:                              ;   in Loop: Header=BB6_153 Depth=2
	s_delay_alu instid0(SALU_CYCLE_1)
	s_or_b32 exec_lo, exec_lo, s31
	s_wait_storecnt_dscnt 0x0
	s_barrier_signal -1
	s_barrier_wait -1
	ds_load_b64 v[30:31], v48
	s_wait_dscnt 0x0
	v_readfirstlane_b32 s4, v31
	s_delay_alu instid0(VALU_DEP_1)
	v_cmp_eq_u32_e32 vcc_lo, s4, v30
	v_mov_b32_e32 v30, s4
	s_cbranch_vccnz .LBB6_152
; %bb.223:                              ;   in Loop: Header=BB6_153 Depth=2
	s_and_saveexec_b32 s3, s0
	s_cbranch_execz .LBB6_151
; %bb.224:                              ;   in Loop: Header=BB6_153 Depth=2
	ds_load_b32 v30, v48 offset:16
	s_mov_b32 s33, 0
	s_wait_dscnt 0x0
	v_dual_mov_b32 v34, v0 :: v_dual_ashrrev_i32 v31, 31, v30
	v_readfirstlane_b32 s31, v30
	s_delay_alu instid0(VALU_DEP_2)
	v_lshlrev_b64_e32 v[30:31], 2, v[30:31]
	s_sub_co_i32 s68, s4, s31
	s_mul_i32 s70, s31, s11
	s_ashr_i32 s69, s68, 31
	s_ashr_i32 s71, s70, 31
	s_mul_u64 s[72:73], s[68:69], s[46:47]
	s_lshl_b64 s[70:71], s[70:71], 2
	s_lshl_b64 s[72:73], s[72:73], 2
	s_cmp_gt_i32 s68, 0
	s_cselect_b32 s31, -1, 0
	s_add_co_i32 s4, s68, -1
	s_delay_alu instid0(SALU_CYCLE_1) | instskip(NEXT) | instid1(SALU_CYCLE_1)
	s_lshl_b64 s[74:75], s[4:5], 2
	v_add_nc_u64_e32 v[30:31], s[74:75], v[30:31]
	s_mul_u64 s[74:75], s[62:63], s[4:5]
	s_delay_alu instid0(SALU_CYCLE_1) | instskip(SKIP_3) | instid1(VALU_DEP_2)
	s_add_nc_u64 s[74:75], s[74:75], s[70:71]
	s_add_nc_u64 s[70:71], s[42:43], s[70:71]
	v_add_nc_u64_e32 v[32:33], s[74:75], v[2:3]
	s_add_nc_u64 s[72:73], s[70:71], s[72:73]
	v_add_nc_u64_e32 v[30:31], s[44:45], v[30:31]
	s_branch .LBB6_226
.LBB6_225:                              ;   in Loop: Header=BB6_226 Depth=3
	s_wait_xcnt 0x0
	v_add_nc_u32_e32 v34, s30, v34
	v_add_nc_u64_e32 v[32:33], s[52:53], v[32:33]
	s_wait_loadcnt 0x0
	global_store_b32 v[36:37], v38, off
	v_cmp_le_i32_e32 vcc_lo, s6, v34
	s_or_b32 s33, vcc_lo, s33
	s_wait_xcnt 0x0
	s_and_not1_b32 exec_lo, exec_lo, s33
	s_cbranch_execz .LBB6_151
.LBB6_226:                              ;   Parent Loop BB6_7 Depth=1
                                        ;     Parent Loop BB6_153 Depth=2
                                        ; =>    This Loop Header: Depth=3
                                        ;         Child Loop BB6_227 Depth 4
	global_load_b32 v38, v34, s[72:73] scale_offset
	v_ashrrev_i32_e32 v35, 31, v34
	v_mov_b64_e32 v[40:41], v[32:33]
	v_mov_b64_e32 v[42:43], v[30:31]
	s_and_not1_b32 vcc_lo, exec_lo, s31
	s_mov_b32 s4, s68
	v_lshl_add_u64 v[36:37], v[34:35], 2, s[70:71]
	s_cbranch_vccnz .LBB6_225
.LBB6_227:                              ;   Parent Loop BB6_7 Depth=1
                                        ;     Parent Loop BB6_153 Depth=2
                                        ;       Parent Loop BB6_226 Depth=3
                                        ; =>      This Inner Loop Header: Depth=4
	s_wait_xcnt 0x0
	s_delay_alu instid0(VALU_DEP_2)
	v_add_nc_u64_e32 v[44:45], s[60:61], v[42:43]
	s_mul_u64 s[74:75], s[4:5], s[46:47]
	s_add_co_i32 s35, s4, -1
	global_load_b32 v46, v[42:43], off
	global_load_b32 v47, v[40:41], off
	;; [unrolled: 1-line block ×3, first 2 shown]
	s_wait_loadcnt 0x3
	s_wait_xcnt 0x0
	v_mov_b32_e32 v44, v38
	v_add_nc_u64_e32 v[42:43], -4, v[42:43]
	v_add_nc_u64_e32 v[40:41], s[64:65], v[40:41]
	s_cmp_eq_u32 s35, 0
	s_mov_b32 s4, s35
	s_wait_loadcnt 0x2
	v_mov_b32_e32 v45, v46
	s_wait_loadcnt 0x0
	v_pk_mul_f32 v[52:53], v[38:39], v[46:47]
	s_delay_alu instid0(VALU_DEP_1) | instskip(NEXT) | instid1(VALU_DEP_1)
	v_dual_mov_b32 v46, v39 :: v_dual_sub_f32 v6, v52, v53
	v_pk_mul_f32 v[38:39], v[44:45], v[46:47]
	v_lshl_add_u64 v[44:45], s[74:75], 2, v[36:37]
	s_delay_alu instid0(VALU_DEP_2)
	v_add_f32_e32 v38, v38, v39
	global_store_b32 v[44:45], v6, off
	s_cbranch_scc0 .LBB6_227
	s_branch .LBB6_225
.LBB6_228:                              ;   in Loop: Header=BB6_153 Depth=2
	s_or_b32 exec_lo, exec_lo, s35
                                        ; implicit-def: $vgpr6
	s_and_not1_saveexec_b32 s3, s33
	s_cbranch_execnz .LBB6_220
	s_branch .LBB6_221
.LBB6_229:
	s_mov_b32 s3, exec_lo
	v_cmpx_gt_i32_e64 s34, v0
	s_cbranch_execz .LBB6_235
; %bb.230:
	v_ashrrev_i32_e32 v1, 31, v0
	s_lshl_b64 s[0:1], s[38:39], 2
	s_lshl_b64 s[4:5], s[36:37], 2
	s_add_nc_u64 s[0:1], s[20:21], s[0:1]
	s_ashr_i32 s31, s30, 31
	v_lshl_add_u64 v[2:3], v[0:1], 2, s[0:1]
	v_mov_b32_e32 v1, 0
	s_add_nc_u64 s[0:1], s[14:15], s[4:5]
	s_lshl_b64 s[4:5], s[30:31], 2
	s_mov_b32 s7, 0
	s_branch .LBB6_232
.LBB6_231:                              ;   in Loop: Header=BB6_232 Depth=1
	s_wait_xcnt 0x0
	s_or_b32 exec_lo, exec_lo, s10
	v_add_nc_u32_e32 v0, s30, v0
	v_add_nc_u64_e32 v[2:3], s[4:5], v[2:3]
	s_delay_alu instid0(VALU_DEP_2) | instskip(SKIP_1) | instid1(SALU_CYCLE_1)
	v_cmp_le_i32_e32 vcc_lo, s34, v0
	s_or_b32 s7, vcc_lo, s7
	s_and_not1_b32 exec_lo, exec_lo, s7
	s_cbranch_execz .LBB6_235
.LBB6_232:                              ; =>This Inner Loop Header: Depth=1
	global_load_b32 v4, v[2:3], off
	s_mov_b32 s10, exec_lo
	s_wait_loadcnt 0x0
	s_wait_xcnt 0x0
	v_cmpx_neq_f32_e32 0, v4
	s_cbranch_execz .LBB6_231
; %bb.233:                              ;   in Loop: Header=BB6_232 Depth=1
	s_mov_b32 s14, exec_lo
	s_delay_alu instid0(SALU_CYCLE_1) | instskip(NEXT) | instid1(VALU_DEP_1)
	v_mbcnt_lo_u32_b32 v4, s14, 0
	v_cmp_eq_u32_e32 vcc_lo, 0, v4
	s_and_b32 s15, exec_lo, vcc_lo
	s_delay_alu instid0(SALU_CYCLE_1)
	s_mov_b32 exec_lo, s15
	s_cbranch_execz .LBB6_231
; %bb.234:                              ;   in Loop: Header=BB6_232 Depth=1
	s_bcnt1_i32_b32 s14, s14
	s_delay_alu instid0(SALU_CYCLE_1)
	v_mov_b32_e32 v4, s14
	global_atomic_add_u32 v1, v4, s[0:1] scope:SCOPE_DEV
	s_branch .LBB6_231
.LBB6_235:
	s_or_b32 exec_lo, exec_lo, s3
	s_cmp_lt_i32 s6, 2
	s_cbranch_scc1 .LBB6_248
; %bb.236:
	s_lshl_b64 s[0:1], s[12:13], 2
	s_lshl_b64 s[4:5], s[22:23], 2
	v_mov_b32_e32 v0, 0
	s_add_nc_u64 s[12:13], s[16:17], s[28:29]
	s_add_nc_u64 s[4:5], s[0:1], s[4:5]
	;; [unrolled: 1-line block ×4, first 2 shown]
	s_mov_b32 s8, 1
	s_branch .LBB6_238
.LBB6_237:                              ;   in Loop: Header=BB6_238 Depth=1
	s_add_co_i32 s8, s8, 1
	s_add_nc_u64 s[0:1], s[0:1], 4
	s_cmp_lg_u32 s8, s6
	s_wait_storecnt 0x0
	s_barrier_signal -1
	s_barrier_wait -1
	s_cbranch_scc0 .LBB6_248
.LBB6_238:                              ; =>This Loop Header: Depth=1
                                        ;     Child Loop BB6_241 Depth 2
                                        ;     Child Loop BB6_247 Depth 2
	s_and_saveexec_b32 s3, s2
	s_cbranch_execz .LBB6_245
; %bb.239:                              ;   in Loop: Header=BB6_238 Depth=1
	s_add_co_i32 s7, s8, -1
	s_delay_alu instid0(SALU_CYCLE_1)
	v_dual_mov_b32 v1, s8 :: v_dual_mov_b32 v4, s7
	s_ashr_i32 s9, s8, 31
	s_mov_b64 s[14:15], s[0:1]
	s_lshl_b64 s[12:13], s[8:9], 2
	global_load_b32 v1, v1, s[18:19] offset:-4 scale_offset
	v_mov_b32_e32 v5, s7
	s_add_nc_u64 s[12:13], s[18:19], s[12:13]
	s_mov_b32 s9, s7
	s_mov_b32 s10, s8
	s_wait_loadcnt 0x0
	v_mov_b32_e32 v2, v1
	ds_store_b64 v0, v[4:5]
	ds_store_b32 v0, v1 offset:8
	s_branch .LBB6_241
.LBB6_240:                              ;   in Loop: Header=BB6_241 Depth=2
	s_add_co_i32 s10, s10, 1
	s_wait_xcnt 0x0
	s_add_nc_u64 s[14:15], s[14:15], 4
	s_cmp_eq_u32 s6, s10
	s_cbranch_scc1 .LBB6_243
.LBB6_241:                              ;   Parent Loop BB6_238 Depth=1
                                        ; =>  This Inner Loop Header: Depth=2
	global_load_b32 v3, v0, s[14:15]
	s_wait_loadcnt 0x0
	v_cmp_nlt_f32_e32 vcc_lo, v3, v2
	s_cbranch_vccnz .LBB6_240
; %bb.242:                              ;   in Loop: Header=BB6_241 Depth=2
	v_dual_mov_b32 v4, s10 :: v_dual_mov_b32 v2, v3
	s_mov_b32 s9, s10
	ds_store_2addr_b32 v0, v4, v3 offset0:1 offset1:2
	s_branch .LBB6_240
.LBB6_243:                              ;   in Loop: Header=BB6_238 Depth=1
	s_cmp_lg_u32 s9, s7
	s_cbranch_scc0 .LBB6_245
; %bb.244:                              ;   in Loop: Header=BB6_238 Depth=1
	v_mov_b32_e32 v3, s9
	s_clause 0x1
	global_store_b32 v3, v1, s[18:19] scale_offset
	global_store_b32 v0, v2, s[12:13] offset:-4
.LBB6_245:                              ;   in Loop: Header=BB6_238 Depth=1
	s_wait_xcnt 0x0
	s_or_b32 exec_lo, exec_lo, s3
	s_wait_storecnt_dscnt 0x0
	s_barrier_signal -1
	s_barrier_wait -1
	ds_load_b64 v[2:3], v0
	s_wait_dscnt 0x0
	v_readfirstlane_b32 s3, v2
	v_readfirstlane_b32 s7, v3
	s_cmp_eq_u32 s7, s3
	s_cbranch_scc1 .LBB6_237
; %bb.246:                              ;   in Loop: Header=BB6_238 Depth=1
	s_mul_i32 s12, s7, s11
	s_mul_i32 s14, s3, s11
	s_ashr_i32 s13, s12, 31
	s_ashr_i32 s15, s14, 31
	s_lshl_b64 s[12:13], s[12:13], 2
	s_lshl_b64 s[14:15], s[14:15], 2
	s_add_nc_u64 s[12:13], s[4:5], s[12:13]
	s_add_nc_u64 s[14:15], s[4:5], s[14:15]
	s_mov_b32 s3, s6
.LBB6_247:                              ;   Parent Loop BB6_238 Depth=1
                                        ; =>  This Inner Loop Header: Depth=2
	s_clause 0x1
	global_load_b32 v1, v0, s[12:13]
	global_load_b32 v2, v0, s[14:15]
	s_add_co_i32 s3, s3, -1
	s_wait_loadcnt 0x1
	global_store_b32 v0, v1, s[14:15]
	s_wait_loadcnt 0x0
	global_store_b32 v0, v2, s[12:13]
	s_cmp_lg_u32 s3, 0
	s_wait_xcnt 0x0
	s_add_nc_u64 s[12:13], s[12:13], 4
	s_add_nc_u64 s[14:15], s[14:15], 4
	s_cbranch_scc1 .LBB6_247
	s_branch .LBB6_237
.LBB6_248:
	s_endpgm
	.section	.rodata,"a",@progbits
	.p2align	6, 0x0
	.amdhsa_kernel _ZN9rocsolver6v33100L12steqr_kernelIffPfEEviPT0_lS4_lT1_iilPiS4_iS3_S3_S3_
		.amdhsa_group_segment_fixed_size 36
		.amdhsa_private_segment_fixed_size 0
		.amdhsa_kernarg_size 352
		.amdhsa_user_sgpr_count 2
		.amdhsa_user_sgpr_dispatch_ptr 0
		.amdhsa_user_sgpr_queue_ptr 0
		.amdhsa_user_sgpr_kernarg_segment_ptr 1
		.amdhsa_user_sgpr_dispatch_id 0
		.amdhsa_user_sgpr_kernarg_preload_length 0
		.amdhsa_user_sgpr_kernarg_preload_offset 0
		.amdhsa_user_sgpr_private_segment_size 0
		.amdhsa_wavefront_size32 1
		.amdhsa_uses_dynamic_stack 0
		.amdhsa_enable_private_segment 0
		.amdhsa_system_sgpr_workgroup_id_x 1
		.amdhsa_system_sgpr_workgroup_id_y 1
		.amdhsa_system_sgpr_workgroup_id_z 0
		.amdhsa_system_sgpr_workgroup_info 0
		.amdhsa_system_vgpr_workitem_id 0
		.amdhsa_next_free_vgpr 62
		.amdhsa_next_free_sgpr 82
		.amdhsa_named_barrier_count 0
		.amdhsa_reserve_vcc 1
		.amdhsa_float_round_mode_32 0
		.amdhsa_float_round_mode_16_64 0
		.amdhsa_float_denorm_mode_32 3
		.amdhsa_float_denorm_mode_16_64 3
		.amdhsa_fp16_overflow 0
		.amdhsa_memory_ordered 1
		.amdhsa_forward_progress 1
		.amdhsa_inst_pref_size 121
		.amdhsa_round_robin_scheduling 0
		.amdhsa_exception_fp_ieee_invalid_op 0
		.amdhsa_exception_fp_denorm_src 0
		.amdhsa_exception_fp_ieee_div_zero 0
		.amdhsa_exception_fp_ieee_overflow 0
		.amdhsa_exception_fp_ieee_underflow 0
		.amdhsa_exception_fp_ieee_inexact 0
		.amdhsa_exception_int_div_zero 0
	.end_amdhsa_kernel
	.section	.text._ZN9rocsolver6v33100L12steqr_kernelIffPfEEviPT0_lS4_lT1_iilPiS4_iS3_S3_S3_,"axG",@progbits,_ZN9rocsolver6v33100L12steqr_kernelIffPfEEviPT0_lS4_lT1_iilPiS4_iS3_S3_S3_,comdat
.Lfunc_end6:
	.size	_ZN9rocsolver6v33100L12steqr_kernelIffPfEEviPT0_lS4_lT1_iilPiS4_iS3_S3_S3_, .Lfunc_end6-_ZN9rocsolver6v33100L12steqr_kernelIffPfEEviPT0_lS4_lT1_iilPiS4_iS3_S3_S3_
                                        ; -- End function
	.set _ZN9rocsolver6v33100L12steqr_kernelIffPfEEviPT0_lS4_lT1_iilPiS4_iS3_S3_S3_.num_vgpr, 62
	.set _ZN9rocsolver6v33100L12steqr_kernelIffPfEEviPT0_lS4_lT1_iilPiS4_iS3_S3_S3_.num_agpr, 0
	.set _ZN9rocsolver6v33100L12steqr_kernelIffPfEEviPT0_lS4_lT1_iilPiS4_iS3_S3_S3_.numbered_sgpr, 82
	.set _ZN9rocsolver6v33100L12steqr_kernelIffPfEEviPT0_lS4_lT1_iilPiS4_iS3_S3_S3_.num_named_barrier, 0
	.set _ZN9rocsolver6v33100L12steqr_kernelIffPfEEviPT0_lS4_lT1_iilPiS4_iS3_S3_S3_.private_seg_size, 0
	.set _ZN9rocsolver6v33100L12steqr_kernelIffPfEEviPT0_lS4_lT1_iilPiS4_iS3_S3_S3_.uses_vcc, 1
	.set _ZN9rocsolver6v33100L12steqr_kernelIffPfEEviPT0_lS4_lT1_iilPiS4_iS3_S3_S3_.uses_flat_scratch, 0
	.set _ZN9rocsolver6v33100L12steqr_kernelIffPfEEviPT0_lS4_lT1_iilPiS4_iS3_S3_S3_.has_dyn_sized_stack, 0
	.set _ZN9rocsolver6v33100L12steqr_kernelIffPfEEviPT0_lS4_lT1_iilPiS4_iS3_S3_S3_.has_recursion, 0
	.set _ZN9rocsolver6v33100L12steqr_kernelIffPfEEviPT0_lS4_lT1_iilPiS4_iS3_S3_S3_.has_indirect_call, 0
	.section	.AMDGPU.csdata,"",@progbits
; Kernel info:
; codeLenInByte = 15372
; TotalNumSgprs: 84
; NumVgprs: 62
; ScratchSize: 0
; MemoryBound: 0
; FloatMode: 240
; IeeeMode: 1
; LDSByteSize: 36 bytes/workgroup (compile time only)
; SGPRBlocks: 0
; VGPRBlocks: 3
; NumSGPRsForWavesPerEU: 84
; NumVGPRsForWavesPerEU: 62
; NamedBarCnt: 0
; Occupancy: 16
; WaveLimiterHint : 0
; COMPUTE_PGM_RSRC2:SCRATCH_EN: 0
; COMPUTE_PGM_RSRC2:USER_SGPR: 2
; COMPUTE_PGM_RSRC2:TRAP_HANDLER: 0
; COMPUTE_PGM_RSRC2:TGID_X_EN: 1
; COMPUTE_PGM_RSRC2:TGID_Y_EN: 1
; COMPUTE_PGM_RSRC2:TGID_Z_EN: 0
; COMPUTE_PGM_RSRC2:TIDIG_COMP_CNT: 0
	.section	.text._ZN9rocsolver6v33100L16reset_batch_infoIdiiPdEEvT2_lT0_T1_,"axG",@progbits,_ZN9rocsolver6v33100L16reset_batch_infoIdiiPdEEvT2_lT0_T1_,comdat
	.globl	_ZN9rocsolver6v33100L16reset_batch_infoIdiiPdEEvT2_lT0_T1_ ; -- Begin function _ZN9rocsolver6v33100L16reset_batch_infoIdiiPdEEvT2_lT0_T1_
	.p2align	8
	.type	_ZN9rocsolver6v33100L16reset_batch_infoIdiiPdEEvT2_lT0_T1_,@function
_ZN9rocsolver6v33100L16reset_batch_infoIdiiPdEEvT2_lT0_T1_: ; @_ZN9rocsolver6v33100L16reset_batch_infoIdiiPdEEvT2_lT0_T1_
; %bb.0:
	s_clause 0x1
	s_load_b32 s5, s[0:1], 0x24
	s_load_b64 s[2:3], s[0:1], 0x10
	s_bfe_u32 s4, ttmp6, 0x4000c
	s_and_b32 s6, ttmp6, 15
	s_add_co_i32 s7, s4, 1
	s_getreg_b32 s4, hwreg(HW_REG_IB_STS2, 6, 4)
	s_mul_i32 s7, ttmp9, s7
	s_delay_alu instid0(SALU_CYCLE_1) | instskip(SKIP_4) | instid1(SALU_CYCLE_1)
	s_add_co_i32 s6, s6, s7
	s_wait_kmcnt 0x0
	s_and_b32 s5, s5, 0xffff
	s_cmp_eq_u32 s4, 0
	s_cselect_b32 s6, ttmp9, s6
	v_mad_u32 v0, s6, s5, v0
	s_delay_alu instid0(VALU_DEP_1)
	v_cmp_gt_i32_e32 vcc_lo, s2, v0
	s_and_saveexec_b32 s2, vcc_lo
	s_cbranch_execz .LBB7_2
; %bb.1:
	v_cvt_f64_i32_e32 v[2:3], s3
	s_load_b128 s[0:3], s[0:1], 0x0
	s_bfe_u32 s5, ttmp6, 0x40010
	s_bfe_u32 s6, ttmp6, 0x40004
	s_add_co_i32 s5, s5, 1
	s_delay_alu instid0(SALU_CYCLE_1) | instskip(NEXT) | instid1(SALU_CYCLE_1)
	s_mul_i32 s5, ttmp7, s5
	s_add_co_i32 s6, s6, s5
	s_cmp_eq_u32 s4, 0
	s_cselect_b32 s4, ttmp7, s6
	s_delay_alu instid0(SALU_CYCLE_1) | instskip(SKIP_2) | instid1(SALU_CYCLE_1)
	s_ashr_i32 s5, s4, 31
	s_wait_kmcnt 0x0
	s_mul_u64 s[2:3], s[2:3], s[4:5]
	s_lshl_b64 s[2:3], s[2:3], 3
	s_delay_alu instid0(SALU_CYCLE_1)
	s_add_nc_u64 s[0:1], s[0:1], s[2:3]
	global_store_b64 v0, v[2:3], s[0:1] scale_offset
.LBB7_2:
	s_endpgm
	.section	.rodata,"a",@progbits
	.p2align	6, 0x0
	.amdhsa_kernel _ZN9rocsolver6v33100L16reset_batch_infoIdiiPdEEvT2_lT0_T1_
		.amdhsa_group_segment_fixed_size 0
		.amdhsa_private_segment_fixed_size 0
		.amdhsa_kernarg_size 280
		.amdhsa_user_sgpr_count 2
		.amdhsa_user_sgpr_dispatch_ptr 0
		.amdhsa_user_sgpr_queue_ptr 0
		.amdhsa_user_sgpr_kernarg_segment_ptr 1
		.amdhsa_user_sgpr_dispatch_id 0
		.amdhsa_user_sgpr_kernarg_preload_length 0
		.amdhsa_user_sgpr_kernarg_preload_offset 0
		.amdhsa_user_sgpr_private_segment_size 0
		.amdhsa_wavefront_size32 1
		.amdhsa_uses_dynamic_stack 0
		.amdhsa_enable_private_segment 0
		.amdhsa_system_sgpr_workgroup_id_x 1
		.amdhsa_system_sgpr_workgroup_id_y 1
		.amdhsa_system_sgpr_workgroup_id_z 0
		.amdhsa_system_sgpr_workgroup_info 0
		.amdhsa_system_vgpr_workitem_id 0
		.amdhsa_next_free_vgpr 4
		.amdhsa_next_free_sgpr 8
		.amdhsa_named_barrier_count 0
		.amdhsa_reserve_vcc 1
		.amdhsa_float_round_mode_32 0
		.amdhsa_float_round_mode_16_64 0
		.amdhsa_float_denorm_mode_32 3
		.amdhsa_float_denorm_mode_16_64 3
		.amdhsa_fp16_overflow 0
		.amdhsa_memory_ordered 1
		.amdhsa_forward_progress 1
		.amdhsa_inst_pref_size 2
		.amdhsa_round_robin_scheduling 0
		.amdhsa_exception_fp_ieee_invalid_op 0
		.amdhsa_exception_fp_denorm_src 0
		.amdhsa_exception_fp_ieee_div_zero 0
		.amdhsa_exception_fp_ieee_overflow 0
		.amdhsa_exception_fp_ieee_underflow 0
		.amdhsa_exception_fp_ieee_inexact 0
		.amdhsa_exception_int_div_zero 0
	.end_amdhsa_kernel
	.section	.text._ZN9rocsolver6v33100L16reset_batch_infoIdiiPdEEvT2_lT0_T1_,"axG",@progbits,_ZN9rocsolver6v33100L16reset_batch_infoIdiiPdEEvT2_lT0_T1_,comdat
.Lfunc_end7:
	.size	_ZN9rocsolver6v33100L16reset_batch_infoIdiiPdEEvT2_lT0_T1_, .Lfunc_end7-_ZN9rocsolver6v33100L16reset_batch_infoIdiiPdEEvT2_lT0_T1_
                                        ; -- End function
	.set _ZN9rocsolver6v33100L16reset_batch_infoIdiiPdEEvT2_lT0_T1_.num_vgpr, 4
	.set _ZN9rocsolver6v33100L16reset_batch_infoIdiiPdEEvT2_lT0_T1_.num_agpr, 0
	.set _ZN9rocsolver6v33100L16reset_batch_infoIdiiPdEEvT2_lT0_T1_.numbered_sgpr, 8
	.set _ZN9rocsolver6v33100L16reset_batch_infoIdiiPdEEvT2_lT0_T1_.num_named_barrier, 0
	.set _ZN9rocsolver6v33100L16reset_batch_infoIdiiPdEEvT2_lT0_T1_.private_seg_size, 0
	.set _ZN9rocsolver6v33100L16reset_batch_infoIdiiPdEEvT2_lT0_T1_.uses_vcc, 1
	.set _ZN9rocsolver6v33100L16reset_batch_infoIdiiPdEEvT2_lT0_T1_.uses_flat_scratch, 0
	.set _ZN9rocsolver6v33100L16reset_batch_infoIdiiPdEEvT2_lT0_T1_.has_dyn_sized_stack, 0
	.set _ZN9rocsolver6v33100L16reset_batch_infoIdiiPdEEvT2_lT0_T1_.has_recursion, 0
	.set _ZN9rocsolver6v33100L16reset_batch_infoIdiiPdEEvT2_lT0_T1_.has_indirect_call, 0
	.section	.AMDGPU.csdata,"",@progbits
; Kernel info:
; codeLenInByte = 192
; TotalNumSgprs: 10
; NumVgprs: 4
; ScratchSize: 0
; MemoryBound: 0
; FloatMode: 240
; IeeeMode: 1
; LDSByteSize: 0 bytes/workgroup (compile time only)
; SGPRBlocks: 0
; VGPRBlocks: 0
; NumSGPRsForWavesPerEU: 10
; NumVGPRsForWavesPerEU: 4
; NamedBarCnt: 0
; Occupancy: 16
; WaveLimiterHint : 0
; COMPUTE_PGM_RSRC2:SCRATCH_EN: 0
; COMPUTE_PGM_RSRC2:USER_SGPR: 2
; COMPUTE_PGM_RSRC2:TRAP_HANDLER: 0
; COMPUTE_PGM_RSRC2:TGID_X_EN: 1
; COMPUTE_PGM_RSRC2:TGID_Y_EN: 1
; COMPUTE_PGM_RSRC2:TGID_Z_EN: 0
; COMPUTE_PGM_RSRC2:TIDIG_COMP_CNT: 0
	.section	.text._ZN9rocsolver6v33100L10init_identIdPdEEviiT0_iil,"axG",@progbits,_ZN9rocsolver6v33100L10init_identIdPdEEviiT0_iil,comdat
	.globl	_ZN9rocsolver6v33100L10init_identIdPdEEviiT0_iil ; -- Begin function _ZN9rocsolver6v33100L10init_identIdPdEEviiT0_iil
	.p2align	8
	.type	_ZN9rocsolver6v33100L10init_identIdPdEEviiT0_iil,@function
_ZN9rocsolver6v33100L10init_identIdPdEEviiT0_iil: ; @_ZN9rocsolver6v33100L10init_identIdPdEEviiT0_iil
; %bb.0:
	s_clause 0x1
	s_load_b32 s5, s[0:1], 0x2c
	s_load_b64 s[2:3], s[0:1], 0x0
	s_bfe_u32 s7, ttmp6, 0x40010
	s_bfe_u32 s10, ttmp6, 0x4000c
	s_and_b32 s6, ttmp7, 0xffff
	s_add_co_i32 s7, s7, 1
	s_add_co_i32 s10, s10, 1
	s_bfe_u32 s8, ttmp6, 0x40004
	s_and_b32 s9, ttmp6, 15
	s_mul_i32 s7, s6, s7
	s_mul_i32 s10, ttmp9, s10
	s_getreg_b32 s4, hwreg(HW_REG_IB_STS2, 6, 4)
	v_and_b32_e32 v1, 0x3ff, v0
	v_bfe_u32 v0, v0, 10, 10
	s_add_co_i32 s8, s8, s7
	s_add_co_i32 s9, s9, s10
	s_wait_kmcnt 0x0
	s_lshr_b32 s7, s5, 16
	s_and_b32 s5, s5, 0xffff
	s_cmp_eq_u32 s4, 0
	s_cselect_b32 s9, ttmp9, s9
	s_cselect_b32 s6, s6, s8
	v_mad_u32 v3, s9, s5, v1
	v_mad_u32 v0, s6, s7, v0
	s_delay_alu instid0(VALU_DEP_2) | instskip(NEXT) | instid1(VALU_DEP_2)
	v_cmp_gt_u32_e32 vcc_lo, s2, v3
	v_cmp_gt_u32_e64 s2, s3, v0
	s_and_b32 s2, vcc_lo, s2
	s_delay_alu instid0(SALU_CYCLE_1)
	s_and_saveexec_b32 s3, s2
	s_cbranch_execz .LBB8_6
; %bb.1:
	s_load_b64 s[2:3], s[0:1], 0x10
	s_mov_b32 s5, exec_lo
                                        ; implicit-def: $vgpr2
	v_cmpx_ne_u32_e64 v3, v0
	s_xor_b32 s5, exec_lo, s5
	s_cbranch_execz .LBB8_3
; %bb.2:
	s_wait_kmcnt 0x0
	v_mad_u32 v2, v0, s3, v3
                                        ; implicit-def: $vgpr3
.LBB8_3:
	s_or_saveexec_b32 s5, s5
	v_mov_b64_e32 v[0:1], 0
	s_xor_b32 exec_lo, exec_lo, s5
	s_cbranch_execz .LBB8_5
; %bb.4:
	s_wait_kmcnt 0x0
	v_mad_u32 v2, v3, s3, v3
	v_mov_b64_e32 v[0:1], 1.0
.LBB8_5:
	s_or_b32 exec_lo, exec_lo, s5
	s_clause 0x1
	s_load_b64 s[6:7], s[0:1], 0x18
	s_load_b64 s[8:9], s[0:1], 0x8
	s_wait_xcnt 0x0
	s_bfe_u32 s0, ttmp6, 0x40014
	s_lshr_b32 s5, ttmp7, 16
	s_add_co_i32 s0, s0, 1
	s_bfe_u32 s1, ttmp6, 0x40008
	s_mul_i32 s0, s5, s0
	s_wait_kmcnt 0x0
	s_ashr_i32 s3, s2, 31
	s_add_co_i32 s0, s1, s0
	s_cmp_eq_u32 s4, 0
	s_mov_b32 s1, 0
	s_cselect_b32 s0, s5, s0
	s_lshl_b64 s[2:3], s[2:3], 3
	s_mul_u64 s[0:1], s[6:7], s[0:1]
	s_delay_alu instid0(SALU_CYCLE_1) | instskip(NEXT) | instid1(SALU_CYCLE_1)
	s_lshl_b64 s[0:1], s[0:1], 3
	s_add_nc_u64 s[0:1], s[8:9], s[0:1]
	s_delay_alu instid0(SALU_CYCLE_1)
	s_add_nc_u64 s[0:1], s[0:1], s[2:3]
	global_store_b64 v2, v[0:1], s[0:1] scale_offset
.LBB8_6:
	s_endpgm
	.section	.rodata,"a",@progbits
	.p2align	6, 0x0
	.amdhsa_kernel _ZN9rocsolver6v33100L10init_identIdPdEEviiT0_iil
		.amdhsa_group_segment_fixed_size 0
		.amdhsa_private_segment_fixed_size 0
		.amdhsa_kernarg_size 288
		.amdhsa_user_sgpr_count 2
		.amdhsa_user_sgpr_dispatch_ptr 0
		.amdhsa_user_sgpr_queue_ptr 0
		.amdhsa_user_sgpr_kernarg_segment_ptr 1
		.amdhsa_user_sgpr_dispatch_id 0
		.amdhsa_user_sgpr_kernarg_preload_length 0
		.amdhsa_user_sgpr_kernarg_preload_offset 0
		.amdhsa_user_sgpr_private_segment_size 0
		.amdhsa_wavefront_size32 1
		.amdhsa_uses_dynamic_stack 0
		.amdhsa_enable_private_segment 0
		.amdhsa_system_sgpr_workgroup_id_x 1
		.amdhsa_system_sgpr_workgroup_id_y 1
		.amdhsa_system_sgpr_workgroup_id_z 1
		.amdhsa_system_sgpr_workgroup_info 0
		.amdhsa_system_vgpr_workitem_id 1
		.amdhsa_next_free_vgpr 4
		.amdhsa_next_free_sgpr 11
		.amdhsa_named_barrier_count 0
		.amdhsa_reserve_vcc 1
		.amdhsa_float_round_mode_32 0
		.amdhsa_float_round_mode_16_64 0
		.amdhsa_float_denorm_mode_32 3
		.amdhsa_float_denorm_mode_16_64 3
		.amdhsa_fp16_overflow 0
		.amdhsa_memory_ordered 1
		.amdhsa_forward_progress 1
		.amdhsa_inst_pref_size 3
		.amdhsa_round_robin_scheduling 0
		.amdhsa_exception_fp_ieee_invalid_op 0
		.amdhsa_exception_fp_denorm_src 0
		.amdhsa_exception_fp_ieee_div_zero 0
		.amdhsa_exception_fp_ieee_overflow 0
		.amdhsa_exception_fp_ieee_underflow 0
		.amdhsa_exception_fp_ieee_inexact 0
		.amdhsa_exception_int_div_zero 0
	.end_amdhsa_kernel
	.section	.text._ZN9rocsolver6v33100L10init_identIdPdEEviiT0_iil,"axG",@progbits,_ZN9rocsolver6v33100L10init_identIdPdEEviiT0_iil,comdat
.Lfunc_end8:
	.size	_ZN9rocsolver6v33100L10init_identIdPdEEviiT0_iil, .Lfunc_end8-_ZN9rocsolver6v33100L10init_identIdPdEEviiT0_iil
                                        ; -- End function
	.set _ZN9rocsolver6v33100L10init_identIdPdEEviiT0_iil.num_vgpr, 4
	.set _ZN9rocsolver6v33100L10init_identIdPdEEviiT0_iil.num_agpr, 0
	.set _ZN9rocsolver6v33100L10init_identIdPdEEviiT0_iil.numbered_sgpr, 11
	.set _ZN9rocsolver6v33100L10init_identIdPdEEviiT0_iil.num_named_barrier, 0
	.set _ZN9rocsolver6v33100L10init_identIdPdEEviiT0_iil.private_seg_size, 0
	.set _ZN9rocsolver6v33100L10init_identIdPdEEviiT0_iil.uses_vcc, 1
	.set _ZN9rocsolver6v33100L10init_identIdPdEEviiT0_iil.uses_flat_scratch, 0
	.set _ZN9rocsolver6v33100L10init_identIdPdEEviiT0_iil.has_dyn_sized_stack, 0
	.set _ZN9rocsolver6v33100L10init_identIdPdEEviiT0_iil.has_recursion, 0
	.set _ZN9rocsolver6v33100L10init_identIdPdEEviiT0_iil.has_indirect_call, 0
	.section	.AMDGPU.csdata,"",@progbits
; Kernel info:
; codeLenInByte = 372
; TotalNumSgprs: 13
; NumVgprs: 4
; ScratchSize: 0
; MemoryBound: 0
; FloatMode: 240
; IeeeMode: 1
; LDSByteSize: 0 bytes/workgroup (compile time only)
; SGPRBlocks: 0
; VGPRBlocks: 0
; NumSGPRsForWavesPerEU: 13
; NumVGPRsForWavesPerEU: 4
; NamedBarCnt: 0
; Occupancy: 16
; WaveLimiterHint : 0
; COMPUTE_PGM_RSRC2:SCRATCH_EN: 0
; COMPUTE_PGM_RSRC2:USER_SGPR: 2
; COMPUTE_PGM_RSRC2:TRAP_HANDLER: 0
; COMPUTE_PGM_RSRC2:TGID_X_EN: 1
; COMPUTE_PGM_RSRC2:TGID_Y_EN: 1
; COMPUTE_PGM_RSRC2:TGID_Z_EN: 1
; COMPUTE_PGM_RSRC2:TIDIG_COMP_CNT: 1
	.section	.text._ZN9rocsolver6v33100L12sterf_kernelIdEEviPT_lS3_lPiS4_iS2_S2_S2_,"axG",@progbits,_ZN9rocsolver6v33100L12sterf_kernelIdEEviPT_lS3_lPiS4_iS2_S2_S2_,comdat
	.globl	_ZN9rocsolver6v33100L12sterf_kernelIdEEviPT_lS3_lPiS4_iS2_S2_S2_ ; -- Begin function _ZN9rocsolver6v33100L12sterf_kernelIdEEviPT_lS3_lPiS4_iS2_S2_S2_
	.p2align	8
	.type	_ZN9rocsolver6v33100L12sterf_kernelIdEEviPT_lS3_lPiS4_iS2_S2_S2_,@function
_ZN9rocsolver6v33100L12sterf_kernelIdEEviPT_lS3_lPiS4_iS2_S2_S2_: ; @_ZN9rocsolver6v33100L12sterf_kernelIdEEviPT_lS3_lPiS4_iS2_S2_S2_
; %bb.0:
	s_clause 0x2
	s_load_b256 s[4:11], s[0:1], 0x8
	s_load_b32 s33, s[0:1], 0x0
	s_load_b32 s56, s[0:1], 0x38
	s_bfe_u32 s2, ttmp6, 0x4000c
	s_and_b32 s3, ttmp6, 15
	s_add_co_i32 s2, s2, 1
	s_getreg_b32 s12, hwreg(HW_REG_IB_STS2, 6, 4)
	s_mul_i32 s2, ttmp9, s2
	s_mov_b32 s29, 0
	s_add_co_i32 s3, s3, s2
	s_cmp_eq_u32 s12, 0
	s_cselect_b32 s16, ttmp9, s3
	s_delay_alu instid0(SALU_CYCLE_1)
	s_ashr_i32 s17, s16, 31
	s_wait_kmcnt 0x0
	s_mul_u64 s[2:3], s[6:7], s[16:17]
	s_mul_u64 s[6:7], s[10:11], s[16:17]
	s_min_i32 s12, s33, s56
	s_lshl_b64 s[10:11], s[2:3], 3
	s_lshl_b64 s[2:3], s[6:7], 3
	s_cmp_lt_i32 s12, 1
	s_add_nc_u64 s[6:7], s[4:5], s[10:11]
	s_add_nc_u64 s[10:11], s[8:9], s[2:3]
	s_cbranch_scc1 .LBB9_147
; %bb.1:
	s_clause 0x1
	s_load_b128 s[12:15], s[0:1], 0x40
	s_load_b64 s[18:19], s[0:1], 0x50
	v_mov_b64_e32 v[2:3], 0
	v_mov_b32_e32 v24, 0
	s_add_nc_u64 s[8:9], s[8:9], s[2:3]
	s_add_co_i32 s57, s33, -1
	s_mov_b64 s[20:21], 0x3ff6a09e667f3bcd
	s_add_nc_u64 s[22:23], s[8:9], -8
	s_add_nc_u64 s[24:25], s[6:7], 8
	s_add_nc_u64 s[26:27], s[8:9], 8
	s_mov_b32 s58, 0
	s_wait_kmcnt 0x0
	v_mul_f64_e64 v[0:1], s[12:13], s[12:13]
	s_branch .LBB9_3
.LBB9_2:                                ;   in Loop: Header=BB9_3 Depth=1
	s_and_not1_b32 vcc_lo, exec_lo, s2
	s_cbranch_vccz .LBB9_20
.LBB9_3:                                ; =>This Loop Header: Depth=1
                                        ;     Child Loop BB9_7 Depth 2
                                        ;     Child Loop BB9_14 Depth 2
	;; [unrolled: 1-line block ×6, first 2 shown]
                                        ;       Child Loop BB9_56 Depth 3
                                        ;       Child Loop BB9_69 Depth 3
                                        ;     Child Loop BB9_101 Depth 2
                                        ;       Child Loop BB9_103 Depth 3
                                        ;       Child Loop BB9_116 Depth 3
                                        ;     Child Loop BB9_46 Depth 2
                                        ;     Child Loop BB9_50 Depth 2
	s_mov_b32 s28, s29
	s_cmp_lt_i32 s29, 1
	s_cbranch_scc1 .LBB9_5
; %bb.4:                                ;   in Loop: Header=BB9_3 Depth=1
	s_wait_xcnt 0x0
	v_mov_b32_e32 v4, s28
	global_store_b64 v4, v[2:3], s[10:11] offset:-8 scale_offset
.LBB9_5:                                ;   in Loop: Header=BB9_3 Depth=1
	s_ashr_i32 s29, s28, 31
	s_mov_b32 s30, s28
	s_lshl_b64 s[34:35], s[28:29], 3
	s_wait_xcnt 0x0
	s_add_nc_u64 s[4:5], s[22:23], s[34:35]
	s_add_nc_u64 s[36:37], s[24:25], s[34:35]
	s_mov_b32 s2, -1
	s_cmp_ge_i32 s30, s57
	s_mov_b32 s3, -1
                                        ; implicit-def: $sgpr29
	s_cbranch_scc1 .LBB9_7
.LBB9_6:                                ;   in Loop: Header=BB9_3 Depth=1
	s_wait_loadcnt 0x0
	s_clause 0x1
	global_load_b128 v[4:7], v24, s[36:37] offset:-8
	global_load_b64 v[16:17], v24, s[4:5] offset:8
	s_wait_xcnt 0x0
	s_add_nc_u64 s[4:5], s[4:5], 8
	s_add_nc_u64 s[36:37], s[36:37], 8
	s_wait_loadcnt 0x1
	v_cmp_gt_f64_e64 s2, 0x10000000, |v[4:5]|
	v_cmp_gt_f64_e64 s3, 0x10000000, |v[6:7]|
	s_and_b32 s2, s2, exec_lo
	s_cselect_b32 s2, 0x100, 0
	s_cselect_b32 s31, 0xffffff80, 0
	s_add_co_i32 s29, s30, 1
	s_and_b32 s3, s3, exec_lo
	v_ldexp_f64 v[4:5], |v[4:5]|, s2
	s_cselect_b32 s2, 0x100, 0
	s_delay_alu instid0(SALU_CYCLE_1) | instskip(SKIP_1) | instid1(VALU_DEP_2)
	v_ldexp_f64 v[6:7], |v[6:7]|, s2
	s_cselect_b32 s2, 0xffffff80, 0
	v_cmp_class_f64_e64 vcc_lo, v[4:5], 0x260
	v_rsq_f64_e32 v[8:9], v[4:5]
	s_delay_alu instid0(VALU_DEP_2) | instskip(SKIP_1) | instid1(TRANS32_DEP_1)
	v_rsq_f64_e32 v[10:11], v[6:7]
	v_nop
	v_mul_f64_e32 v[14:15], v[6:7], v[10:11]
	v_mul_f64_e32 v[10:11], 0.5, v[10:11]
	s_delay_alu instid0(VALU_DEP_1) | instskip(NEXT) | instid1(VALU_DEP_1)
	v_fma_f64 v[20:21], -v[10:11], v[14:15], 0.5
	v_fmac_f64_e32 v[14:15], v[14:15], v[20:21]
	v_fmac_f64_e32 v[10:11], v[10:11], v[20:21]
	s_delay_alu instid0(VALU_DEP_2) | instskip(NEXT) | instid1(VALU_DEP_1)
	v_fma_f64 v[20:21], -v[14:15], v[14:15], v[6:7]
	v_fmac_f64_e32 v[14:15], v[20:21], v[10:11]
	s_delay_alu instid0(VALU_DEP_1) | instskip(NEXT) | instid1(VALU_DEP_1)
	v_fma_f64 v[20:21], -v[14:15], v[14:15], v[6:7]
	v_fmac_f64_e32 v[14:15], v[20:21], v[10:11]
	s_delay_alu instid0(VALU_DEP_1) | instskip(SKIP_1) | instid1(TRANS32_DEP_2)
	v_ldexp_f64 v[10:11], v[14:15], s2
	v_cmp_class_f64_e64 s2, v[6:7], 0x260
	v_mul_f64_e32 v[12:13], v[4:5], v[8:9]
	s_delay_alu instid0(VALU_DEP_2) | instskip(NEXT) | instid1(VALU_DEP_4)
	v_dual_mul_f64 v[8:9], 0.5, v[8:9] :: v_dual_cndmask_b32 v6, v10, v6, s2
	v_cndmask_b32_e64 v7, v11, v7, s2
	s_delay_alu instid0(VALU_DEP_2) | instskip(SKIP_1) | instid1(VALU_DEP_1)
	v_fma_f64 v[18:19], -v[8:9], v[12:13], 0.5
	s_mov_b32 s2, 0
	v_fmac_f64_e32 v[12:13], v[12:13], v[18:19]
	v_fmac_f64_e32 v[8:9], v[8:9], v[18:19]
	s_delay_alu instid0(VALU_DEP_2) | instskip(NEXT) | instid1(VALU_DEP_1)
	v_fma_f64 v[18:19], -v[12:13], v[12:13], v[4:5]
	v_fmac_f64_e32 v[12:13], v[18:19], v[8:9]
	s_delay_alu instid0(VALU_DEP_1) | instskip(NEXT) | instid1(VALU_DEP_1)
	v_fma_f64 v[18:19], -v[12:13], v[12:13], v[4:5]
	v_fmac_f64_e32 v[12:13], v[18:19], v[8:9]
	s_delay_alu instid0(VALU_DEP_1) | instskip(NEXT) | instid1(VALU_DEP_1)
	v_ldexp_f64 v[8:9], v[12:13], s31
	v_dual_cndmask_b32 v5, v9, v5 :: v_dual_cndmask_b32 v4, v8, v4
	s_delay_alu instid0(VALU_DEP_1) | instskip(NEXT) | instid1(VALU_DEP_1)
	v_mul_f64_e32 v[4:5], v[4:5], v[6:7]
	v_mul_f64_e32 v[4:5], s[12:13], v[4:5]
	s_wait_loadcnt 0x0
	s_delay_alu instid0(VALU_DEP_1)
	v_cmp_le_f64_e64 s3, |v[16:17]|, v[4:5]
.LBB9_7:                                ;   Parent Loop BB9_3 Depth=1
                                        ; =>  This Inner Loop Header: Depth=2
	s_delay_alu instid0(VALU_DEP_1)
	s_and_not1_b32 vcc_lo, exec_lo, s3
	s_cbranch_vccz .LBB9_9
; %bb.8:                                ;   in Loop: Header=BB9_7 Depth=2
	s_mov_b32 s30, s29
	s_mov_b32 s2, -1
	s_cmp_ge_i32 s30, s57
	s_mov_b32 s3, -1
                                        ; implicit-def: $sgpr29
	s_cbranch_scc0 .LBB9_6
	s_branch .LBB9_7
.LBB9_9:                                ;   in Loop: Header=BB9_3 Depth=1
	s_and_not1_b32 vcc_lo, exec_lo, s2
	s_mov_b32 s2, -1
	s_cbranch_vccnz .LBB9_16
; %bb.10:                               ;   in Loop: Header=BB9_3 Depth=1
	s_and_not1_b32 vcc_lo, exec_lo, s2
	s_cbranch_vccz .LBB9_17
.LBB9_11:                               ;   in Loop: Header=BB9_3 Depth=1
	s_cmp_lg_u32 s30, s28
	s_mov_b32 s38, -1
	s_cbranch_scc0 .LBB9_18
.LBB9_12:                               ;   in Loop: Header=BB9_3 Depth=1
	s_wait_xcnt 0x0
	v_mov_b32_e32 v4, s30
	s_cmp_lt_i32 s28, s30
	s_cselect_b32 s40, -1, 0
	s_cmp_ge_i32 s28, s30
	s_wait_loadcnt 0x0
	global_load_b64 v[6:7], v4, s[6:7] scale_offset
	s_wait_loadcnt 0x0
	v_and_b32_e32 v5, 0x7fffffff, v7
	s_wait_xcnt 0x0
	v_mov_b32_e32 v4, v6
	s_cbranch_scc1 .LBB9_15
; %bb.13:                               ;   in Loop: Header=BB9_3 Depth=1
	s_add_nc_u64 s[2:3], s[6:7], s[34:35]
	s_add_nc_u64 s[4:5], s[8:9], s[34:35]
	s_mov_b32 s31, s28
.LBB9_14:                               ;   Parent Loop BB9_3 Depth=1
                                        ; =>  This Inner Loop Header: Depth=2
	s_clause 0x1
	global_load_b64 v[8:9], v24, s[4:5]
	global_load_b64 v[10:11], v24, s[2:3]
	v_max_num_f64_e32 v[4:5], v[4:5], v[4:5]
	s_add_co_i32 s31, s31, 1
	s_wait_xcnt 0x0
	s_add_nc_u64 s[2:3], s[2:3], 8
	s_cmp_lt_i32 s31, s30
	s_add_nc_u64 s[4:5], s[4:5], 8
	s_wait_loadcnt 0x1
	v_max_num_f64_e64 v[8:9], |v[8:9]|, |v[8:9]|
	s_wait_loadcnt 0x0
	v_max_num_f64_e64 v[10:11], |v[10:11]|, |v[10:11]|
	s_delay_alu instid0(VALU_DEP_1) | instskip(NEXT) | instid1(VALU_DEP_1)
	v_max_num_f64_e32 v[8:9], v[10:11], v[8:9]
	v_max_num_f64_e32 v[4:5], v[4:5], v[8:9]
	s_cbranch_scc1 .LBB9_14
.LBB9_15:                               ;   in Loop: Header=BB9_3 Depth=1
	s_ashr_i32 s31, s30, 31
	s_delay_alu instid0(SALU_CYCLE_1) | instskip(NEXT) | instid1(SALU_CYCLE_1)
	s_lshl_b64 s[2:3], s[30:31], 3
	s_add_nc_u64 s[36:37], s[6:7], s[2:3]
	s_delay_alu instid0(VALU_DEP_1)
	v_cmp_eq_f64_e64 s2, 0, v[4:5]
	s_and_b32 vcc_lo, exec_lo, s2
	s_mov_b32 s2, -1
	s_cbranch_vccz .LBB9_2
	s_branch .LBB9_19
.LBB9_16:                               ;   in Loop: Header=BB9_3 Depth=1
	global_store_b64 v24, v[2:3], s[4:5]
	s_cbranch_execnz .LBB9_11
.LBB9_17:                               ;   in Loop: Header=BB9_3 Depth=1
	s_max_i32 s30, s28, s57
	s_delay_alu instid0(SALU_CYCLE_1)
	s_add_co_i32 s29, s30, 1
	s_cmp_lg_u32 s30, s28
	s_mov_b32 s38, -1
	s_cbranch_scc1 .LBB9_12
.LBB9_18:                               ;   in Loop: Header=BB9_3 Depth=1
                                        ; implicit-def: $sgpr36_sgpr37
                                        ; implicit-def: $vgpr6_vgpr7
                                        ; implicit-def: $sgpr40
                                        ; implicit-def: $vgpr4_vgpr5
	s_mov_b32 s2, -1
	s_cbranch_execz .LBB9_2
.LBB9_19:                               ;   in Loop: Header=BB9_3 Depth=1
	s_cmp_ge_i32 s29, s33
	s_mov_b32 s38, 0
	s_cselect_b32 s2, -1, 0
	s_branch .LBB9_2
.LBB9_20:                               ;   in Loop: Header=BB9_3 Depth=1
	s_and_b32 vcc_lo, exec_lo, s38
	s_mov_b32 s2, -1
                                        ; implicit-def: $sgpr59
	s_cbranch_vccz .LBB9_52
; %bb.21:                               ;   in Loop: Header=BB9_3 Depth=1
	v_cmp_nlt_f64_e32 vcc_lo, s[18:19], v[4:5]
	s_add_nc_u64 s[38:39], s[6:7], s[34:35]
	s_cbranch_vccz .LBB9_27
; %bb.22:                               ;   in Loop: Header=BB9_3 Depth=1
	v_cmp_gt_f64_e32 vcc_lo, s[14:15], v[4:5]
	s_cbranch_vccz .LBB9_28
; %bb.23:                               ;   in Loop: Header=BB9_3 Depth=1
	v_div_scale_f64 v[8:9], null, s[14:15], s[14:15], v[4:5]
	v_div_scale_f64 v[14:15], vcc_lo, v[4:5], s[14:15], v[4:5]
	s_mov_b32 s2, 0
	v_rcp_f64_e32 v[10:11], v[8:9]
	v_nop
	s_delay_alu instid0(TRANS32_DEP_1) | instskip(NEXT) | instid1(VALU_DEP_1)
	v_fma_f64 v[12:13], -v[8:9], v[10:11], 1.0
	v_fmac_f64_e32 v[10:11], v[10:11], v[12:13]
	s_delay_alu instid0(VALU_DEP_1) | instskip(NEXT) | instid1(VALU_DEP_1)
	v_fma_f64 v[12:13], -v[8:9], v[10:11], 1.0
	v_fmac_f64_e32 v[10:11], v[10:11], v[12:13]
	s_delay_alu instid0(VALU_DEP_1) | instskip(NEXT) | instid1(VALU_DEP_1)
	v_mul_f64_e32 v[12:13], v[14:15], v[10:11]
	v_fma_f64 v[8:9], -v[8:9], v[12:13], v[14:15]
	s_delay_alu instid0(VALU_DEP_1) | instskip(SKIP_1) | instid1(VALU_DEP_1)
	v_div_fmas_f64 v[8:9], v[8:9], v[10:11], v[12:13]
	s_and_b32 vcc_lo, exec_lo, s40
	v_div_fixup_f64 v[8:9], v[8:9], s[14:15], v[4:5]
	s_wait_loadcnt 0x0
	s_delay_alu instid0(VALU_DEP_1)
	v_mul_f64_e32 v[10:11], v[6:7], v[8:9]
	global_store_b64 v24, v[10:11], s[36:37]
	s_cbranch_vccz .LBB9_28
; %bb.24:                               ;   in Loop: Header=BB9_3 Depth=1
	s_add_nc_u64 s[2:3], s[6:7], s[34:35]
	s_wait_xcnt 0x1
	s_add_nc_u64 s[4:5], s[8:9], s[34:35]
	s_mov_b32 s31, s28
.LBB9_25:                               ;   Parent Loop BB9_3 Depth=1
                                        ; =>  This Inner Loop Header: Depth=2
	global_load_b64 v[10:11], v24, s[2:3]
	s_add_co_i32 s31, s31, 1
	s_delay_alu instid0(SALU_CYCLE_1)
	s_cmp_lt_i32 s31, s30
	s_wait_loadcnt 0x0
	v_mul_f64_e32 v[10:11], v[8:9], v[10:11]
	s_clause 0x1
	global_store_b64 v24, v[10:11], s[2:3]
	global_load_b64 v[10:11], v24, s[4:5]
	s_add_nc_u64 s[2:3], s[2:3], 8
	s_wait_loadcnt 0x0
	v_mul_f64_e32 v[10:11], v[8:9], v[10:11]
	global_store_b64 v24, v[10:11], s[4:5]
	s_wait_xcnt 0x0
	s_add_nc_u64 s[4:5], s[4:5], 8
	s_cbranch_scc1 .LBB9_25
; %bb.26:                               ;   in Loop: Header=BB9_3 Depth=1
	s_mov_b32 s2, -1
	s_branch .LBB9_33
.LBB9_27:                               ;   in Loop: Header=BB9_3 Depth=1
	s_mov_b32 s2, 0
	s_cbranch_execnz .LBB9_29
	s_branch .LBB9_33
.LBB9_28:                               ;   in Loop: Header=BB9_3 Depth=1
	s_branch .LBB9_33
.LBB9_29:                               ;   in Loop: Header=BB9_3 Depth=1
	v_div_scale_f64 v[8:9], null, s[18:19], s[18:19], v[4:5]
	v_div_scale_f64 v[14:15], vcc_lo, v[4:5], s[18:19], v[4:5]
	s_wait_xcnt 0x0
	s_delay_alu instid0(VALU_DEP_2) | instskip(SKIP_1) | instid1(TRANS32_DEP_1)
	v_rcp_f64_e32 v[10:11], v[8:9]
	v_nop
	v_fma_f64 v[12:13], -v[8:9], v[10:11], 1.0
	s_delay_alu instid0(VALU_DEP_1) | instskip(NEXT) | instid1(VALU_DEP_1)
	v_fmac_f64_e32 v[10:11], v[10:11], v[12:13]
	v_fma_f64 v[12:13], -v[8:9], v[10:11], 1.0
	s_delay_alu instid0(VALU_DEP_1) | instskip(NEXT) | instid1(VALU_DEP_1)
	v_fmac_f64_e32 v[10:11], v[10:11], v[12:13]
	v_mul_f64_e32 v[12:13], v[14:15], v[10:11]
	s_delay_alu instid0(VALU_DEP_1) | instskip(NEXT) | instid1(VALU_DEP_1)
	v_fma_f64 v[8:9], -v[8:9], v[12:13], v[14:15]
	v_div_fmas_f64 v[8:9], v[8:9], v[10:11], v[12:13]
	s_and_b32 vcc_lo, exec_lo, s40
	s_delay_alu instid0(VALU_DEP_1) | instskip(SKIP_1) | instid1(VALU_DEP_1)
	v_div_fixup_f64 v[8:9], v[8:9], s[18:19], v[4:5]
	s_wait_loadcnt 0x0
	v_mul_f64_e32 v[6:7], v[6:7], v[8:9]
	global_store_b64 v24, v[6:7], s[36:37]
	s_cbranch_vccz .LBB9_33
; %bb.30:                               ;   in Loop: Header=BB9_3 Depth=1
	s_add_nc_u64 s[2:3], s[6:7], s[34:35]
	s_add_nc_u64 s[4:5], s[8:9], s[34:35]
	s_mov_b32 s31, s28
.LBB9_31:                               ;   Parent Loop BB9_3 Depth=1
                                        ; =>  This Inner Loop Header: Depth=2
	global_load_b64 v[6:7], v24, s[2:3]
	s_add_co_i32 s31, s31, 1
	s_delay_alu instid0(SALU_CYCLE_1)
	s_cmp_ge_i32 s31, s30
	s_wait_loadcnt 0x0
	v_mul_f64_e32 v[6:7], v[8:9], v[6:7]
	s_clause 0x1
	global_store_b64 v24, v[6:7], s[2:3]
	global_load_b64 v[6:7], v24, s[4:5]
	s_add_nc_u64 s[2:3], s[2:3], 8
	s_wait_loadcnt 0x0
	v_mul_f64_e32 v[6:7], v[8:9], v[6:7]
	global_store_b64 v24, v[6:7], s[4:5]
	s_wait_xcnt 0x0
	s_add_nc_u64 s[4:5], s[4:5], 8
	s_cbranch_scc0 .LBB9_31
; %bb.32:                               ;   in Loop: Header=BB9_3 Depth=1
	s_mov_b32 s2, -1
.LBB9_33:                               ;   in Loop: Header=BB9_3 Depth=1
	s_wait_xcnt 0x0
	s_wait_loadcnt 0x0
	v_cndmask_b32_e64 v6, 0, 1, s40
	s_and_b32 vcc_lo, exec_lo, s2
	s_delay_alu instid0(VALU_DEP_1)
	v_cmp_ne_u32_e64 s2, 1, v6
	s_cbranch_vccz .LBB9_37
; %bb.34:                               ;   in Loop: Header=BB9_3 Depth=1
	s_and_b32 vcc_lo, exec_lo, s2
	s_cbranch_vccnz .LBB9_37
; %bb.35:                               ;   in Loop: Header=BB9_3 Depth=1
	s_add_nc_u64 s[4:5], s[8:9], s[34:35]
	s_mov_b32 s3, s28
.LBB9_36:                               ;   Parent Loop BB9_3 Depth=1
                                        ; =>  This Inner Loop Header: Depth=2
	global_load_b64 v[6:7], v24, s[4:5]
	s_add_co_i32 s3, s3, 1
	s_delay_alu instid0(SALU_CYCLE_1)
	s_cmp_lt_i32 s3, s30
	s_wait_loadcnt 0x0
	v_mul_f64_e32 v[6:7], v[6:7], v[6:7]
	global_store_b64 v24, v[6:7], s[4:5]
	s_wait_xcnt 0x0
	s_add_nc_u64 s[4:5], s[4:5], 8
	s_cbranch_scc1 .LBB9_36
.LBB9_37:                               ;   in Loop: Header=BB9_3 Depth=1
	s_clause 0x1
	global_load_b64 v[6:7], v24, s[36:37]
	global_load_b64 v[8:9], v24, s[38:39]
	s_mov_b32 s4, -1
                                        ; implicit-def: $sgpr59
	s_wait_loadcnt 0x0
	v_cmp_lt_f64_e64 s3, |v[6:7]|, |v[8:9]|
	s_and_b32 s3, s3, exec_lo
	s_cselect_b32 s31, s28, s30
	s_cselect_b32 s40, s30, s28
	s_cmp_lt_i32 s58, s56
	s_cselect_b32 s3, -1, 0
	s_cmp_lt_i32 s31, s40
	v_cndmask_b32_e64 v6, 0, 1, s3
	s_delay_alu instid0(VALU_DEP_1)
	v_cmp_ne_u32_e64 s3, 1, v6
	s_cbranch_scc0 .LBB9_40
; %bb.38:                               ;   in Loop: Header=BB9_3 Depth=1
	s_and_not1_b32 vcc_lo, exec_lo, s4
	s_cbranch_vccz .LBB9_42
.LBB9_39:                               ;   in Loop: Header=BB9_3 Depth=1
	v_cmp_lt_f64_e32 vcc_lo, s[18:19], v[4:5]
	s_and_not1_b32 vcc_lo, exec_lo, vcc_lo
	s_cbranch_vccz .LBB9_44
	s_branch .LBB9_47
.LBB9_40:                               ;   in Loop: Header=BB9_3 Depth=1
	s_and_b32 vcc_lo, exec_lo, s3
	s_mov_b32 s59, s58
	s_mov_b32 s42, s40
	s_cbranch_vccz .LBB9_54
.LBB9_41:                               ;   in Loop: Header=BB9_3 Depth=1
	s_cbranch_execnz .LBB9_39
.LBB9_42:                               ;   in Loop: Header=BB9_3 Depth=1
	s_and_b32 vcc_lo, exec_lo, s3
	s_cbranch_vccz .LBB9_101
.LBB9_43:                               ;   in Loop: Header=BB9_3 Depth=1
	s_mov_b32 s59, s58
	v_cmp_lt_f64_e32 vcc_lo, s[18:19], v[4:5]
	s_and_not1_b32 vcc_lo, exec_lo, vcc_lo
	s_cbranch_vccnz .LBB9_47
.LBB9_44:                               ;   in Loop: Header=BB9_3 Depth=1
	s_wait_loadcnt 0x0
	v_div_scale_f64 v[6:7], null, v[4:5], v[4:5], s[18:19]
	global_load_b64 v[8:9], v24, s[36:37]
	v_rcp_f64_e32 v[10:11], v[6:7]
	v_nop
	s_delay_alu instid0(TRANS32_DEP_1) | instskip(NEXT) | instid1(VALU_DEP_1)
	v_fma_f64 v[12:13], -v[6:7], v[10:11], 1.0
	v_fmac_f64_e32 v[10:11], v[10:11], v[12:13]
	s_delay_alu instid0(VALU_DEP_1) | instskip(NEXT) | instid1(VALU_DEP_1)
	v_fma_f64 v[12:13], -v[6:7], v[10:11], 1.0
	v_fmac_f64_e32 v[10:11], v[10:11], v[12:13]
	v_div_scale_f64 v[12:13], vcc_lo, s[18:19], v[4:5], s[18:19]
	s_delay_alu instid0(VALU_DEP_1) | instskip(NEXT) | instid1(VALU_DEP_1)
	v_mul_f64_e32 v[14:15], v[12:13], v[10:11]
	v_fma_f64 v[6:7], -v[6:7], v[14:15], v[12:13]
	s_delay_alu instid0(VALU_DEP_1) | instskip(SKIP_1) | instid1(VALU_DEP_1)
	v_div_fmas_f64 v[6:7], v[6:7], v[10:11], v[14:15]
	s_and_b32 vcc_lo, exec_lo, s2
	v_div_fixup_f64 v[6:7], v[6:7], v[4:5], s[18:19]
	s_wait_loadcnt 0x0
	s_delay_alu instid0(VALU_DEP_1)
	v_mul_f64_e32 v[8:9], v[6:7], v[8:9]
	global_store_b64 v24, v[8:9], s[36:37]
	s_cbranch_vccnz .LBB9_47
; %bb.45:                               ;   in Loop: Header=BB9_3 Depth=1
	s_add_nc_u64 s[4:5], s[6:7], s[34:35]
	s_add_nc_u64 s[40:41], s[8:9], s[34:35]
	s_mov_b32 s3, s28
.LBB9_46:                               ;   Parent Loop BB9_3 Depth=1
                                        ; =>  This Inner Loop Header: Depth=2
	global_load_b64 v[8:9], v24, s[4:5]
	s_add_co_i32 s3, s3, 1
	s_delay_alu instid0(SALU_CYCLE_1)
	s_cmp_lt_i32 s3, s30
	s_wait_loadcnt 0x0
	v_mul_f64_e32 v[8:9], v[6:7], v[8:9]
	s_clause 0x1
	global_store_b64 v24, v[8:9], s[4:5]
	global_load_b64 v[8:9], v24, s[40:41]
	s_add_nc_u64 s[4:5], s[4:5], 8
	s_wait_loadcnt 0x0
	v_mul_f64_e32 v[8:9], v[6:7], v[8:9]
	global_store_b64 v24, v[8:9], s[40:41]
	s_wait_xcnt 0x0
	s_add_nc_u64 s[40:41], s[40:41], 8
	s_cbranch_scc1 .LBB9_46
.LBB9_47:                               ;   in Loop: Header=BB9_3 Depth=1
	v_cmp_ngt_f64_e32 vcc_lo, s[14:15], v[4:5]
	s_cbranch_vccnz .LBB9_51
; %bb.48:                               ;   in Loop: Header=BB9_3 Depth=1
	s_wait_loadcnt 0x0
	v_div_scale_f64 v[6:7], null, v[4:5], v[4:5], s[14:15]
	global_load_b64 v[8:9], v24, s[36:37]
	v_rcp_f64_e32 v[10:11], v[6:7]
	v_nop
	s_delay_alu instid0(TRANS32_DEP_1) | instskip(NEXT) | instid1(VALU_DEP_1)
	v_fma_f64 v[12:13], -v[6:7], v[10:11], 1.0
	v_fmac_f64_e32 v[10:11], v[10:11], v[12:13]
	s_delay_alu instid0(VALU_DEP_1) | instskip(NEXT) | instid1(VALU_DEP_1)
	v_fma_f64 v[12:13], -v[6:7], v[10:11], 1.0
	v_fmac_f64_e32 v[10:11], v[10:11], v[12:13]
	v_div_scale_f64 v[12:13], vcc_lo, s[14:15], v[4:5], s[14:15]
	s_delay_alu instid0(VALU_DEP_1) | instskip(NEXT) | instid1(VALU_DEP_1)
	v_mul_f64_e32 v[14:15], v[12:13], v[10:11]
	v_fma_f64 v[6:7], -v[6:7], v[14:15], v[12:13]
	s_delay_alu instid0(VALU_DEP_1) | instskip(SKIP_1) | instid1(VALU_DEP_1)
	v_div_fmas_f64 v[6:7], v[6:7], v[10:11], v[14:15]
	s_and_b32 vcc_lo, exec_lo, s2
	v_div_fixup_f64 v[4:5], v[6:7], v[4:5], s[14:15]
	s_wait_loadcnt 0x0
	s_delay_alu instid0(VALU_DEP_1)
	v_mul_f64_e32 v[6:7], v[4:5], v[8:9]
	global_store_b64 v24, v[6:7], s[36:37]
	s_cbranch_vccnz .LBB9_51
; %bb.49:                               ;   in Loop: Header=BB9_3 Depth=1
	s_add_nc_u64 s[2:3], s[8:9], s[34:35]
.LBB9_50:                               ;   Parent Loop BB9_3 Depth=1
                                        ; =>  This Inner Loop Header: Depth=2
	global_load_b64 v[6:7], v24, s[38:39]
	s_add_co_i32 s28, s28, 1
	s_delay_alu instid0(SALU_CYCLE_1)
	s_cmp_lt_i32 s28, s30
	s_wait_loadcnt 0x0
	v_mul_f64_e32 v[6:7], v[4:5], v[6:7]
	s_clause 0x1
	global_store_b64 v24, v[6:7], s[38:39]
	global_load_b64 v[6:7], v24, s[2:3]
	s_add_nc_u64 s[38:39], s[38:39], 8
	s_wait_loadcnt 0x0
	v_mul_f64_e32 v[6:7], v[4:5], v[6:7]
	global_store_b64 v24, v[6:7], s[2:3]
	s_wait_xcnt 0x0
	s_add_nc_u64 s[2:3], s[2:3], 8
	s_cbranch_scc1 .LBB9_50
.LBB9_51:                               ;   in Loop: Header=BB9_3 Depth=1
	s_cmp_ge_i32 s59, s56
	s_cselect_b32 s2, -1, 0
	s_cmp_ge_i32 s29, s33
	s_cselect_b32 s3, -1, 0
	s_delay_alu instid0(SALU_CYCLE_1)
	s_or_b32 s2, s3, s2
.LBB9_52:                               ;   in Loop: Header=BB9_3 Depth=1
	s_delay_alu instid0(SALU_CYCLE_1)
	s_and_b32 vcc_lo, exec_lo, s2
	s_mov_b32 s58, s59
	s_cbranch_vccz .LBB9_3
	s_branch .LBB9_147
.LBB9_53:                               ;   in Loop: Header=BB9_54 Depth=2
	s_and_not1_b32 vcc_lo, exec_lo, s5
	s_cbranch_vccz .LBB9_41
.LBB9_54:                               ;   Parent Loop BB9_3 Depth=1
                                        ; =>  This Loop Header: Depth=2
                                        ;       Child Loop BB9_56 Depth 3
                                        ;       Child Loop BB9_69 Depth 3
	s_ashr_i32 s43, s42, 31
	s_wait_xcnt 0x1
	s_max_i32 s44, s31, s42
	s_wait_xcnt 0x0
	s_lshl_b64 s[48:49], s[42:43], 3
	s_mov_b32 s41, s42
	s_add_nc_u64 s[4:5], s[22:23], s[48:49]
	s_add_nc_u64 s[46:47], s[24:25], s[48:49]
	s_mov_b32 s43, -1
	s_cmp_ge_i32 s41, s31
	s_mov_b32 s50, -1
                                        ; implicit-def: $sgpr45
	s_cbranch_scc1 .LBB9_56
.LBB9_55:                               ;   in Loop: Header=BB9_54 Depth=2
	s_wait_loadcnt 0x0
	s_clause 0x1
	global_load_b128 v[6:9], v24, s[46:47] offset:-8
	global_load_b64 v[10:11], v24, s[4:5] offset:8
	s_wait_xcnt 0x0
	s_add_nc_u64 s[4:5], s[4:5], 8
	s_add_co_i32 s45, s41, 1
	s_add_nc_u64 s[46:47], s[46:47], 8
	s_mov_b32 s43, 0
	s_wait_loadcnt 0x1
	v_mul_f64_e32 v[6:7], v[6:7], v[8:9]
	s_delay_alu instid0(VALU_DEP_1) | instskip(SKIP_1) | instid1(VALU_DEP_1)
	v_mul_f64_e64 v[6:7], v[0:1], |v[6:7]|
	s_wait_loadcnt 0x0
	v_cmp_le_f64_e64 s50, |v[10:11]|, v[6:7]
.LBB9_56:                               ;   Parent Loop BB9_3 Depth=1
                                        ;     Parent Loop BB9_54 Depth=2
                                        ; =>    This Inner Loop Header: Depth=3
	s_delay_alu instid0(VALU_DEP_1)
	s_and_not1_b32 vcc_lo, exec_lo, s50
	s_cbranch_vccz .LBB9_58
; %bb.57:                               ;   in Loop: Header=BB9_56 Depth=3
	s_mov_b32 s41, s45
	s_mov_b32 s43, -1
	s_cmp_ge_i32 s41, s31
	s_mov_b32 s50, -1
                                        ; implicit-def: $sgpr45
	s_cbranch_scc0 .LBB9_55
	s_branch .LBB9_56
.LBB9_58:                               ;   in Loop: Header=BB9_54 Depth=2
	s_and_not1_b32 vcc_lo, exec_lo, s43
	s_cbranch_vccz .LBB9_60
; %bb.59:                               ;   in Loop: Header=BB9_54 Depth=2
	s_mov_b32 s44, s41
	global_store_b64 v24, v[2:3], s[4:5]
.LBB9_60:                               ;   in Loop: Header=BB9_54 Depth=2
	s_wait_xcnt 0x0
	s_add_co_i32 s4, s42, 1
	s_cmp_eq_u32 s44, s42
	s_mov_b32 s5, -1
	s_cbranch_scc1 .LBB9_75
; %bb.61:                               ;   in Loop: Header=BB9_54 Depth=2
	s_add_nc_u64 s[46:47], s[6:7], s[48:49]
	s_cmp_lg_u32 s44, s4
	s_wait_loadcnt 0x0
	global_load_b64 v[6:7], v24, s[46:47]
	s_cbranch_scc0 .LBB9_76
; %bb.62:                               ;   in Loop: Header=BB9_54 Depth=2
	s_mov_b32 s41, 0
	s_cmp_lg_u32 s59, s56
	s_mov_b32 s43, s56
	s_mov_b32 s4, 0
	s_cbranch_scc0 .LBB9_77
; %bb.63:                               ;   in Loop: Header=BB9_54 Depth=2
	s_add_nc_u64 s[50:51], s[10:11], s[48:49]
	s_clause 0x1
	global_load_b64 v[8:9], v24, s[50:51]
	global_load_b64 v[10:11], v24, s[46:47] offset:8
	s_wait_loadcnt 0x1
	v_cmp_gt_f64_e32 vcc_lo, 0x10000000, v[8:9]
	s_wait_loadcnt 0x0
	v_add_f64_e64 v[10:11], v[10:11], -v[6:7]
	s_and_b32 s4, vcc_lo, exec_lo
	s_cselect_b32 s4, 0x100, 0
	s_delay_alu instid0(SALU_CYCLE_1) | instskip(SKIP_1) | instid1(VALU_DEP_1)
	v_ldexp_f64 v[8:9], v[8:9], s4
	s_cselect_b32 s4, 0xffffff80, 0
	v_rsq_f64_e32 v[12:13], v[8:9]
	v_cmp_class_f64_e64 vcc_lo, v[8:9], 0x260
	s_delay_alu instid0(TRANS32_DEP_1) | instskip(SKIP_1) | instid1(VALU_DEP_1)
	v_mul_f64_e32 v[14:15], v[8:9], v[12:13]
	v_mul_f64_e32 v[12:13], 0.5, v[12:13]
	v_fma_f64 v[16:17], -v[12:13], v[14:15], 0.5
	s_delay_alu instid0(VALU_DEP_1) | instskip(SKIP_1) | instid1(VALU_DEP_2)
	v_fmac_f64_e32 v[14:15], v[14:15], v[16:17]
	v_fmac_f64_e32 v[12:13], v[12:13], v[16:17]
	v_fma_f64 v[16:17], -v[14:15], v[14:15], v[8:9]
	s_delay_alu instid0(VALU_DEP_1) | instskip(NEXT) | instid1(VALU_DEP_1)
	v_fmac_f64_e32 v[14:15], v[16:17], v[12:13]
	v_fma_f64 v[16:17], -v[14:15], v[14:15], v[8:9]
	s_delay_alu instid0(VALU_DEP_1) | instskip(NEXT) | instid1(VALU_DEP_1)
	v_fmac_f64_e32 v[14:15], v[16:17], v[12:13]
	v_ldexp_f64 v[12:13], v[14:15], s4
	s_delay_alu instid0(VALU_DEP_1) | instskip(NEXT) | instid1(VALU_DEP_1)
	v_dual_cndmask_b32 v9, v13, v9 :: v_dual_cndmask_b32 v8, v12, v8
	v_add_f64_e32 v[12:13], v[8:9], v[8:9]
	s_delay_alu instid0(VALU_DEP_1) | instskip(SKIP_1) | instid1(VALU_DEP_2)
	v_div_scale_f64 v[14:15], null, v[12:13], v[12:13], v[10:11]
	v_div_scale_f64 v[20:21], vcc_lo, v[10:11], v[12:13], v[10:11]
	v_rcp_f64_e32 v[16:17], v[14:15]
	v_nop
	s_delay_alu instid0(TRANS32_DEP_1) | instskip(NEXT) | instid1(VALU_DEP_1)
	v_fma_f64 v[18:19], -v[14:15], v[16:17], 1.0
	v_fmac_f64_e32 v[16:17], v[16:17], v[18:19]
	s_delay_alu instid0(VALU_DEP_1) | instskip(NEXT) | instid1(VALU_DEP_1)
	v_fma_f64 v[18:19], -v[14:15], v[16:17], 1.0
	v_fmac_f64_e32 v[16:17], v[16:17], v[18:19]
	s_delay_alu instid0(VALU_DEP_1) | instskip(NEXT) | instid1(VALU_DEP_1)
	v_mul_f64_e32 v[18:19], v[20:21], v[16:17]
	v_fma_f64 v[14:15], -v[14:15], v[18:19], v[20:21]
	s_delay_alu instid0(VALU_DEP_1) | instskip(NEXT) | instid1(VALU_DEP_1)
	v_div_fmas_f64 v[14:15], v[14:15], v[16:17], v[18:19]
	v_div_fixup_f64 v[10:11], v[14:15], v[12:13], v[10:11]
	s_delay_alu instid0(VALU_DEP_1) | instskip(NEXT) | instid1(VALU_DEP_1)
	v_fma_f64 v[12:13], v[10:11], v[10:11], 1.0
	v_cmp_gt_f64_e32 vcc_lo, 0x10000000, v[12:13]
	s_and_b32 s4, vcc_lo, exec_lo
	s_cselect_b32 s4, 0x100, 0
	s_delay_alu instid0(SALU_CYCLE_1) | instskip(SKIP_2) | instid1(VALU_DEP_1)
	v_ldexp_f64 v[12:13], v[12:13], s4
	s_cselect_b32 s4, 0xffffff80, 0
	s_cmp_le_i32 s44, s42
	v_rsq_f64_e32 v[14:15], v[12:13]
	v_cmp_class_f64_e64 vcc_lo, v[12:13], 0x260
	s_delay_alu instid0(TRANS32_DEP_1) | instskip(SKIP_1) | instid1(VALU_DEP_1)
	v_mul_f64_e32 v[16:17], v[12:13], v[14:15]
	v_mul_f64_e32 v[14:15], 0.5, v[14:15]
	v_fma_f64 v[18:19], -v[14:15], v[16:17], 0.5
	s_delay_alu instid0(VALU_DEP_1) | instskip(SKIP_1) | instid1(VALU_DEP_2)
	v_fmac_f64_e32 v[16:17], v[16:17], v[18:19]
	v_fmac_f64_e32 v[14:15], v[14:15], v[18:19]
	v_fma_f64 v[18:19], -v[16:17], v[16:17], v[12:13]
	s_delay_alu instid0(VALU_DEP_1) | instskip(NEXT) | instid1(VALU_DEP_1)
	v_fmac_f64_e32 v[16:17], v[18:19], v[14:15]
	v_fma_f64 v[18:19], -v[16:17], v[16:17], v[12:13]
	s_delay_alu instid0(VALU_DEP_1) | instskip(NEXT) | instid1(VALU_DEP_1)
	v_fmac_f64_e32 v[16:17], v[18:19], v[14:15]
	v_ldexp_f64 v[14:15], v[16:17], s4
	v_mov_b32_e32 v16, s44
	global_load_b64 v[16:17], v16, s[6:7] scale_offset
	v_cndmask_b32_e32 v13, v15, v13, vcc_lo
	s_delay_alu instid0(VALU_DEP_1) | instskip(SKIP_3) | instid1(VALU_DEP_3)
	v_and_b32_e32 v15, 0x7fffffff, v13
	v_or_b32_e32 v13, 0x80000000, v13
	v_cndmask_b32_e32 v12, v14, v12, vcc_lo
	v_cmp_nle_f64_e32 vcc_lo, 0, v[10:11]
	v_cndmask_b32_e32 v13, v15, v13, vcc_lo
	s_delay_alu instid0(VALU_DEP_1) | instskip(NEXT) | instid1(VALU_DEP_1)
	v_add_f64_e32 v[10:11], v[10:11], v[12:13]
	v_div_scale_f64 v[12:13], null, v[10:11], v[10:11], v[8:9]
	s_delay_alu instid0(VALU_DEP_1) | instskip(SKIP_1) | instid1(TRANS32_DEP_1)
	v_rcp_f64_e32 v[14:15], v[12:13]
	v_nop
	v_fma_f64 v[18:19], -v[12:13], v[14:15], 1.0
	s_delay_alu instid0(VALU_DEP_1) | instskip(NEXT) | instid1(VALU_DEP_1)
	v_fmac_f64_e32 v[14:15], v[14:15], v[18:19]
	v_fma_f64 v[18:19], -v[12:13], v[14:15], 1.0
	s_delay_alu instid0(VALU_DEP_1) | instskip(SKIP_1) | instid1(VALU_DEP_1)
	v_fmac_f64_e32 v[14:15], v[14:15], v[18:19]
	v_div_scale_f64 v[18:19], vcc_lo, v[8:9], v[10:11], v[8:9]
	v_mul_f64_e32 v[20:21], v[18:19], v[14:15]
	s_delay_alu instid0(VALU_DEP_1) | instskip(NEXT) | instid1(VALU_DEP_1)
	v_fma_f64 v[12:13], -v[12:13], v[20:21], v[18:19]
	v_div_fmas_f64 v[12:13], v[12:13], v[14:15], v[20:21]
	s_delay_alu instid0(VALU_DEP_1) | instskip(SKIP_1) | instid1(VALU_DEP_2)
	v_div_fixup_f64 v[8:9], v[12:13], v[10:11], v[8:9]
	v_mov_b64_e32 v[12:13], 0
	v_add_f64_e64 v[8:9], v[6:7], -v[8:9]
	s_wait_loadcnt 0x0
	s_delay_alu instid0(VALU_DEP_1) | instskip(SKIP_1) | instid1(VALU_DEP_1)
	v_add_f64_e64 v[14:15], v[16:17], -v[8:9]
	s_wait_xcnt 0x0
	v_mul_f64_e32 v[16:17], v[14:15], v[14:15]
	s_cbranch_scc1 .LBB9_97
; %bb.64:                               ;   in Loop: Header=BB9_54 Depth=2
	s_ashr_i32 s45, s44, 31
	s_delay_alu instid0(SALU_CYCLE_1) | instskip(NEXT) | instid1(SALU_CYCLE_1)
	s_lshl_b64 s[52:53], s[44:45], 3
	s_add_nc_u64 s[54:55], s[10:11], s[52:53]
	s_add_nc_u64 s[52:53], s[6:7], s[52:53]
	s_clause 0x1
	global_load_b64 v[10:11], v24, s[54:55] offset:-8
	global_load_b64 v[20:21], v24, s[52:53] offset:-8
	s_wait_loadcnt 0x1
	v_add_f64_e32 v[18:19], v[16:17], v[10:11]
	s_delay_alu instid0(VALU_DEP_1) | instskip(SKIP_2) | instid1(VALU_DEP_3)
	v_div_scale_f64 v[12:13], null, v[18:19], v[18:19], v[16:17]
	v_div_scale_f64 v[22:23], null, v[18:19], v[18:19], v[10:11]
	v_div_scale_f64 v[34:35], vcc_lo, v[16:17], v[18:19], v[16:17]
	v_rcp_f64_e32 v[26:27], v[12:13]
	s_delay_alu instid0(VALU_DEP_2) | instskip(NEXT) | instid1(TRANS32_DEP_2)
	v_rcp_f64_e32 v[28:29], v[22:23]
	v_fma_f64 v[30:31], -v[12:13], v[26:27], 1.0
	s_delay_alu instid0(TRANS32_DEP_1) | instskip(NEXT) | instid1(VALU_DEP_2)
	v_fma_f64 v[32:33], -v[22:23], v[28:29], 1.0
	v_fmac_f64_e32 v[26:27], v[26:27], v[30:31]
	s_delay_alu instid0(VALU_DEP_2) | instskip(NEXT) | instid1(VALU_DEP_2)
	v_fmac_f64_e32 v[28:29], v[28:29], v[32:33]
	v_fma_f64 v[30:31], -v[12:13], v[26:27], 1.0
	s_delay_alu instid0(VALU_DEP_2) | instskip(NEXT) | instid1(VALU_DEP_2)
	v_fma_f64 v[32:33], -v[22:23], v[28:29], 1.0
	v_fmac_f64_e32 v[26:27], v[26:27], v[30:31]
	v_div_scale_f64 v[30:31], s4, v[10:11], v[18:19], v[10:11]
	s_delay_alu instid0(VALU_DEP_3) | instskip(NEXT) | instid1(VALU_DEP_3)
	v_fmac_f64_e32 v[28:29], v[28:29], v[32:33]
	v_mul_f64_e32 v[32:33], v[34:35], v[26:27]
	s_delay_alu instid0(VALU_DEP_2) | instskip(NEXT) | instid1(VALU_DEP_2)
	v_mul_f64_e32 v[36:37], v[30:31], v[28:29]
	v_fma_f64 v[12:13], -v[12:13], v[32:33], v[34:35]
	s_delay_alu instid0(VALU_DEP_2) | instskip(NEXT) | instid1(VALU_DEP_2)
	v_fma_f64 v[22:23], -v[22:23], v[36:37], v[30:31]
	v_div_fmas_f64 v[26:27], v[12:13], v[26:27], v[32:33]
	s_mov_b32 vcc_lo, s4
	s_delay_alu instid0(VALU_DEP_2) | instskip(SKIP_2) | instid1(VALU_DEP_3)
	v_div_fmas_f64 v[12:13], v[22:23], v[28:29], v[36:37]
	s_wait_loadcnt 0x0
	v_add_f64_e64 v[22:23], v[20:21], -v[8:9]
	v_div_fixup_f64 v[16:17], v[26:27], v[18:19], v[16:17]
	s_delay_alu instid0(VALU_DEP_3) | instskip(NEXT) | instid1(VALU_DEP_2)
	v_div_fixup_f64 v[12:13], v[12:13], v[18:19], v[10:11]
	v_cmp_eq_f64_e32 vcc_lo, 0, v[16:17]
	s_delay_alu instid0(VALU_DEP_2) | instskip(SKIP_1) | instid1(VALU_DEP_1)
	v_mul_f64_e32 v[18:19], v[14:15], v[12:13]
	s_and_b32 vcc_lo, exec_lo, vcc_lo
	v_fma_f64 v[18:19], v[16:17], v[22:23], -v[18:19]
	s_delay_alu instid0(VALU_DEP_1) | instskip(NEXT) | instid1(VALU_DEP_1)
	v_add_f64_e64 v[20:21], v[20:21], -v[18:19]
	v_add_f64_e32 v[14:15], v[14:15], v[20:21]
	global_store_b64 v24, v[14:15], s[52:53]
	s_cbranch_vccnz .LBB9_66
; %bb.65:                               ;   in Loop: Header=BB9_54 Depth=2
	v_mul_f64_e32 v[10:11], v[18:19], v[18:19]
	s_wait_xcnt 0x0
	s_delay_alu instid0(VALU_DEP_1) | instskip(NEXT) | instid1(VALU_DEP_1)
	v_div_scale_f64 v[14:15], null, v[16:17], v[16:17], v[10:11]
	v_rcp_f64_e32 v[20:21], v[14:15]
	v_nop
	s_delay_alu instid0(TRANS32_DEP_1) | instskip(NEXT) | instid1(VALU_DEP_1)
	v_fma_f64 v[22:23], -v[14:15], v[20:21], 1.0
	v_fmac_f64_e32 v[20:21], v[20:21], v[22:23]
	s_delay_alu instid0(VALU_DEP_1) | instskip(NEXT) | instid1(VALU_DEP_1)
	v_fma_f64 v[22:23], -v[14:15], v[20:21], 1.0
	v_fmac_f64_e32 v[20:21], v[20:21], v[22:23]
	v_div_scale_f64 v[22:23], vcc_lo, v[10:11], v[16:17], v[10:11]
	s_delay_alu instid0(VALU_DEP_1) | instskip(NEXT) | instid1(VALU_DEP_1)
	v_mul_f64_e32 v[26:27], v[22:23], v[20:21]
	v_fma_f64 v[14:15], -v[14:15], v[26:27], v[22:23]
	s_delay_alu instid0(VALU_DEP_1) | instskip(NEXT) | instid1(VALU_DEP_1)
	v_div_fmas_f64 v[14:15], v[14:15], v[20:21], v[26:27]
	v_div_fixup_f64 v[10:11], v[14:15], v[16:17], v[10:11]
.LBB9_66:                               ;   in Loop: Header=BB9_54 Depth=2
	s_add_co_i32 s4, s44, -1
	s_delay_alu instid0(SALU_CYCLE_1)
	s_cmp_le_i32 s4, s42
	s_cbranch_scc1 .LBB9_95
; %bb.67:                               ;   in Loop: Header=BB9_54 Depth=2
	s_wait_xcnt 0x0
	s_add_co_i32 s52, s44, -2
	s_mov_b32 s43, -1
	s_ashr_i32 s53, s52, 31
	s_delay_alu instid0(SALU_CYCLE_1) | instskip(NEXT) | instid1(SALU_CYCLE_1)
	s_lshl_b64 s[54:55], s[52:53], 3
	s_add_nc_u64 s[52:53], s[24:25], s[54:55]
	s_add_nc_u64 s[54:55], s[26:27], s[54:55]
	global_load_b64 v[20:21], v24, s[54:55] offset:-8
	s_cmp_eq_u32 s43, 0
	s_wait_loadcnt 0x0
	v_add_f64_e32 v[14:15], v[10:11], v[20:21]
	s_cbranch_scc1 .LBB9_69
.LBB9_68:                               ;   in Loop: Header=BB9_54 Depth=2
	s_delay_alu instid0(VALU_DEP_1)
	v_mul_f64_e32 v[12:13], v[12:13], v[14:15]
	global_store_b64 v24, v[12:13], s[54:55]
.LBB9_69:                               ;   Parent Loop BB9_3 Depth=1
                                        ;     Parent Loop BB9_54 Depth=2
                                        ; =>    This Inner Loop Header: Depth=3
	s_wait_xcnt 0x0
	s_delay_alu instid0(VALU_DEP_1)
	v_div_scale_f64 v[12:13], null, v[14:15], v[14:15], v[10:11]
	v_div_scale_f64 v[22:23], null, v[14:15], v[14:15], v[20:21]
	global_load_b64 v[26:27], v24, s[52:53] offset:-8
	v_div_scale_f64 v[36:37], vcc_lo, v[10:11], v[14:15], v[10:11]
	v_rcp_f64_e32 v[28:29], v[12:13]
	v_rcp_f64_e32 v[30:31], v[22:23]
	s_delay_alu instid0(TRANS32_DEP_2) | instskip(NEXT) | instid1(TRANS32_DEP_1)
	v_fma_f64 v[32:33], -v[12:13], v[28:29], 1.0
	v_fma_f64 v[34:35], -v[22:23], v[30:31], 1.0
	s_delay_alu instid0(VALU_DEP_2) | instskip(NEXT) | instid1(VALU_DEP_2)
	v_fmac_f64_e32 v[28:29], v[28:29], v[32:33]
	v_fmac_f64_e32 v[30:31], v[30:31], v[34:35]
	s_delay_alu instid0(VALU_DEP_2) | instskip(NEXT) | instid1(VALU_DEP_2)
	v_fma_f64 v[32:33], -v[12:13], v[28:29], 1.0
	v_fma_f64 v[34:35], -v[22:23], v[30:31], 1.0
	s_delay_alu instid0(VALU_DEP_2) | instskip(SKIP_1) | instid1(VALU_DEP_3)
	v_fmac_f64_e32 v[28:29], v[28:29], v[32:33]
	v_div_scale_f64 v[32:33], s4, v[20:21], v[14:15], v[20:21]
	v_fmac_f64_e32 v[30:31], v[30:31], v[34:35]
	s_delay_alu instid0(VALU_DEP_3) | instskip(NEXT) | instid1(VALU_DEP_2)
	v_mul_f64_e32 v[34:35], v[36:37], v[28:29]
	v_mul_f64_e32 v[38:39], v[32:33], v[30:31]
	s_delay_alu instid0(VALU_DEP_2) | instskip(NEXT) | instid1(VALU_DEP_2)
	v_fma_f64 v[12:13], -v[12:13], v[34:35], v[36:37]
	v_fma_f64 v[22:23], -v[22:23], v[38:39], v[32:33]
	s_delay_alu instid0(VALU_DEP_2) | instskip(SKIP_1) | instid1(VALU_DEP_2)
	v_div_fmas_f64 v[28:29], v[12:13], v[28:29], v[34:35]
	s_mov_b32 vcc_lo, s4
	v_div_fmas_f64 v[12:13], v[22:23], v[30:31], v[38:39]
	s_delay_alu instid0(VALU_DEP_2) | instskip(NEXT) | instid1(VALU_DEP_2)
	v_div_fixup_f64 v[22:23], v[28:29], v[14:15], v[10:11]
	v_div_fixup_f64 v[12:13], v[12:13], v[14:15], v[20:21]
	s_wait_loadcnt 0x0
	v_add_f64_e64 v[10:11], v[26:27], -v[8:9]
	s_delay_alu instid0(VALU_DEP_3) | instskip(NEXT) | instid1(VALU_DEP_3)
	v_cmp_eq_f64_e32 vcc_lo, 0, v[22:23]
	v_mul_f64_e32 v[14:15], v[18:19], v[12:13]
	s_and_b32 vcc_lo, exec_lo, vcc_lo
	s_delay_alu instid0(VALU_DEP_1) | instskip(NEXT) | instid1(VALU_DEP_1)
	v_fma_f64 v[14:15], v[22:23], v[10:11], -v[14:15]
	v_add_f64_e64 v[10:11], v[26:27], -v[14:15]
	s_delay_alu instid0(VALU_DEP_1)
	v_add_f64_e32 v[10:11], v[18:19], v[10:11]
	global_store_b64 v24, v[10:11], s[52:53]
	s_cbranch_vccz .LBB9_74
; %bb.70:                               ;   in Loop: Header=BB9_69 Depth=3
	s_wait_xcnt 0x0
	v_mul_f64_e32 v[10:11], v[16:17], v[20:21]
	s_cbranch_execnz .LBB9_72
.LBB9_71:                               ;   in Loop: Header=BB9_69 Depth=3
	s_wait_xcnt 0x0
	v_mul_f64_e32 v[10:11], v[14:15], v[14:15]
	s_delay_alu instid0(VALU_DEP_1) | instskip(NEXT) | instid1(VALU_DEP_1)
	v_div_scale_f64 v[16:17], null, v[22:23], v[22:23], v[10:11]
	v_rcp_f64_e32 v[18:19], v[16:17]
	v_nop
	s_delay_alu instid0(TRANS32_DEP_1) | instskip(NEXT) | instid1(VALU_DEP_1)
	v_fma_f64 v[20:21], -v[16:17], v[18:19], 1.0
	v_fmac_f64_e32 v[18:19], v[18:19], v[20:21]
	s_delay_alu instid0(VALU_DEP_1) | instskip(NEXT) | instid1(VALU_DEP_1)
	v_fma_f64 v[20:21], -v[16:17], v[18:19], 1.0
	v_fmac_f64_e32 v[18:19], v[18:19], v[20:21]
	v_div_scale_f64 v[20:21], vcc_lo, v[10:11], v[22:23], v[10:11]
	s_delay_alu instid0(VALU_DEP_1) | instskip(NEXT) | instid1(VALU_DEP_1)
	v_mul_f64_e32 v[26:27], v[20:21], v[18:19]
	v_fma_f64 v[16:17], -v[16:17], v[26:27], v[20:21]
	s_delay_alu instid0(VALU_DEP_1) | instskip(NEXT) | instid1(VALU_DEP_1)
	v_div_fmas_f64 v[16:17], v[16:17], v[18:19], v[26:27]
	v_div_fixup_f64 v[10:11], v[16:17], v[22:23], v[10:11]
.LBB9_72:                               ;   in Loop: Header=BB9_69 Depth=3
	s_add_co_i32 s43, s43, -1
	s_add_nc_u64 s[54:55], s[54:55], -8
	s_add_co_i32 s4, s44, s43
	s_wait_xcnt 0x0
	s_add_nc_u64 s[52:53], s[52:53], -8
	s_cmp_le_i32 s4, s42
	s_cbranch_scc1 .LBB9_96
; %bb.73:                               ;   in Loop: Header=BB9_69 Depth=3
	v_mov_b64_e32 v[16:17], v[22:23]
	v_mov_b64_e32 v[18:19], v[14:15]
	global_load_b64 v[20:21], v24, s[54:55] offset:-8
	s_cmp_eq_u32 s43, 0
	s_wait_loadcnt 0x0
	v_add_f64_e32 v[14:15], v[10:11], v[20:21]
	s_cbranch_scc0 .LBB9_68
	s_branch .LBB9_69
.LBB9_74:                               ;   in Loop: Header=BB9_69 Depth=3
                                        ; implicit-def: $vgpr10_vgpr11
	s_branch .LBB9_71
.LBB9_75:                               ;   in Loop: Header=BB9_54 Depth=2
	s_mov_b32 s42, s4
	s_cbranch_execz .LBB9_53
	s_branch .LBB9_99
.LBB9_76:                               ;   in Loop: Header=BB9_54 Depth=2
	s_mov_b32 s41, -1
	s_mov_b32 s4, 0
                                        ; implicit-def: $sgpr43
.LBB9_77:                               ;   in Loop: Header=BB9_54 Depth=2
	s_and_b32 vcc_lo, exec_lo, s41
	s_cbranch_vccz .LBB9_98
.LBB9_78:                               ;   in Loop: Header=BB9_54 Depth=2
	s_add_nc_u64 s[48:49], s[10:11], s[48:49]
	global_load_b64 v[8:9], v24, s[48:49]
	s_wait_loadcnt 0x0
	v_cmp_gt_f64_e32 vcc_lo, 0x10000000, v[8:9]
	s_and_b32 s4, vcc_lo, exec_lo
	s_cselect_b32 s4, 0x100, 0
	s_delay_alu instid0(SALU_CYCLE_1) | instskip(SKIP_1) | instid1(VALU_DEP_1)
	v_ldexp_f64 v[8:9], v[8:9], s4
	s_cselect_b32 s4, 0xffffff80, 0
	v_rsq_f64_e32 v[12:13], v[8:9]
	v_mov_b32_e32 v10, s44
	v_cmp_class_f64_e64 vcc_lo, v[8:9], 0x260
	s_delay_alu instid0(TRANS32_DEP_1) | instskip(SKIP_2) | instid1(VALU_DEP_1)
	v_mul_f64_e32 v[14:15], v[8:9], v[12:13]
	global_load_b64 v[10:11], v10, s[6:7] scale_offset
	v_mul_f64_e32 v[12:13], 0.5, v[12:13]
	v_fma_f64 v[16:17], -v[12:13], v[14:15], 0.5
	s_delay_alu instid0(VALU_DEP_1) | instskip(SKIP_1) | instid1(VALU_DEP_2)
	v_fmac_f64_e32 v[14:15], v[14:15], v[16:17]
	v_fmac_f64_e32 v[12:13], v[12:13], v[16:17]
	v_fma_f64 v[16:17], -v[14:15], v[14:15], v[8:9]
	s_delay_alu instid0(VALU_DEP_1) | instskip(NEXT) | instid1(VALU_DEP_1)
	v_fmac_f64_e32 v[14:15], v[16:17], v[12:13]
	v_fma_f64 v[16:17], -v[14:15], v[14:15], v[8:9]
	s_delay_alu instid0(VALU_DEP_1) | instskip(NEXT) | instid1(VALU_DEP_1)
	v_fmac_f64_e32 v[14:15], v[16:17], v[12:13]
	v_ldexp_f64 v[12:13], v[14:15], s4
	s_delay_alu instid0(VALU_DEP_1) | instskip(NEXT) | instid1(VALU_DEP_1)
	v_dual_cndmask_b32 v9, v13, v9 :: v_dual_cndmask_b32 v8, v12, v8
	v_add_f64_e32 v[16:17], v[8:9], v[8:9]
	s_wait_loadcnt 0x0
	v_add_f64_e64 v[14:15], v[6:7], -v[10:11]
	s_delay_alu instid0(VALU_DEP_1)
	v_cmp_ngt_f64_e64 s4, |v[14:15]|, |v[16:17]|
	s_and_b32 vcc_lo, exec_lo, s4
	s_cbranch_vccz .LBB9_81
; %bb.79:                               ;   in Loop: Header=BB9_54 Depth=2
	v_cmp_nlt_f64_e64 s4, |v[14:15]|, |v[16:17]|
	s_and_b32 vcc_lo, exec_lo, s4
	s_cbranch_vccz .LBB9_82
; %bb.80:                               ;   in Loop: Header=BB9_54 Depth=2
	v_mul_f64_e64 v[12:13], |v[16:17]|, s[20:21]
	s_cbranch_execz .LBB9_83
	s_branch .LBB9_84
.LBB9_81:                               ;   in Loop: Header=BB9_54 Depth=2
                                        ; implicit-def: $vgpr12_vgpr13
	s_branch .LBB9_85
.LBB9_82:                               ;   in Loop: Header=BB9_54 Depth=2
                                        ; implicit-def: $vgpr12_vgpr13
.LBB9_83:                               ;   in Loop: Header=BB9_54 Depth=2
	v_and_b32_e32 v13, 0x7fffffff, v15
	v_dual_mov_b32 v12, v14 :: v_dual_mov_b32 v18, v16
	v_and_b32_e32 v19, 0x7fffffff, v17
	s_delay_alu instid0(VALU_DEP_1) | instskip(SKIP_1) | instid1(VALU_DEP_2)
	v_div_scale_f64 v[20:21], null, v[18:19], v[18:19], v[12:13]
	v_div_scale_f64 v[12:13], vcc_lo, v[12:13], v[18:19], v[12:13]
	v_rcp_f64_e32 v[22:23], v[20:21]
	v_nop
	s_delay_alu instid0(TRANS32_DEP_1) | instskip(NEXT) | instid1(VALU_DEP_1)
	v_fma_f64 v[26:27], -v[20:21], v[22:23], 1.0
	v_fmac_f64_e32 v[22:23], v[22:23], v[26:27]
	s_delay_alu instid0(VALU_DEP_1) | instskip(NEXT) | instid1(VALU_DEP_1)
	v_fma_f64 v[26:27], -v[20:21], v[22:23], 1.0
	v_fmac_f64_e32 v[22:23], v[22:23], v[26:27]
	s_delay_alu instid0(VALU_DEP_1) | instskip(NEXT) | instid1(VALU_DEP_1)
	v_mul_f64_e32 v[18:19], v[12:13], v[22:23]
	v_fma_f64 v[12:13], -v[20:21], v[18:19], v[12:13]
	s_delay_alu instid0(VALU_DEP_1) | instskip(NEXT) | instid1(VALU_DEP_1)
	v_div_fmas_f64 v[12:13], v[12:13], v[22:23], v[18:19]
	v_div_fixup_f64 v[12:13], v[12:13], |v[16:17]|, |v[14:15]|
	s_delay_alu instid0(VALU_DEP_1) | instskip(NEXT) | instid1(VALU_DEP_1)
	v_fma_f64 v[12:13], v[12:13], v[12:13], 1.0
	v_cmp_gt_f64_e32 vcc_lo, 0x10000000, v[12:13]
	s_and_b32 s4, vcc_lo, exec_lo
	s_cselect_b32 s4, 0x100, 0
	s_delay_alu instid0(SALU_CYCLE_1) | instskip(SKIP_1) | instid1(VALU_DEP_1)
	v_ldexp_f64 v[12:13], v[12:13], s4
	s_cselect_b32 s4, 0xffffff80, 0
	v_rsq_f64_e32 v[18:19], v[12:13]
	v_cmp_class_f64_e64 vcc_lo, v[12:13], 0x260
	s_delay_alu instid0(TRANS32_DEP_1) | instskip(SKIP_1) | instid1(VALU_DEP_1)
	v_mul_f64_e32 v[20:21], v[12:13], v[18:19]
	v_mul_f64_e32 v[18:19], 0.5, v[18:19]
	v_fma_f64 v[22:23], -v[18:19], v[20:21], 0.5
	s_delay_alu instid0(VALU_DEP_1) | instskip(SKIP_1) | instid1(VALU_DEP_2)
	v_fmac_f64_e32 v[20:21], v[20:21], v[22:23]
	v_fmac_f64_e32 v[18:19], v[18:19], v[22:23]
	v_fma_f64 v[22:23], -v[20:21], v[20:21], v[12:13]
	s_delay_alu instid0(VALU_DEP_1) | instskip(NEXT) | instid1(VALU_DEP_1)
	v_fmac_f64_e32 v[20:21], v[22:23], v[18:19]
	v_fma_f64 v[22:23], -v[20:21], v[20:21], v[12:13]
	s_delay_alu instid0(VALU_DEP_1) | instskip(NEXT) | instid1(VALU_DEP_1)
	v_fmac_f64_e32 v[20:21], v[22:23], v[18:19]
	v_ldexp_f64 v[18:19], v[20:21], s4
	s_delay_alu instid0(VALU_DEP_1) | instskip(NEXT) | instid1(VALU_DEP_1)
	v_dual_cndmask_b32 v13, v19, v13 :: v_dual_cndmask_b32 v12, v18, v12
	v_mul_f64_e64 v[12:13], |v[16:17]|, v[12:13]
.LBB9_84:                               ;   in Loop: Header=BB9_54 Depth=2
	s_cbranch_execnz .LBB9_86
.LBB9_85:                               ;   in Loop: Header=BB9_54 Depth=2
	v_and_b32_e32 v13, 0x7fffffff, v17
	v_dual_mov_b32 v12, v16 :: v_dual_mov_b32 v18, v14
	v_and_b32_e32 v19, 0x7fffffff, v15
	s_delay_alu instid0(VALU_DEP_1) | instskip(SKIP_1) | instid1(VALU_DEP_2)
	v_div_scale_f64 v[20:21], null, v[18:19], v[18:19], v[12:13]
	v_div_scale_f64 v[12:13], vcc_lo, v[12:13], v[18:19], v[12:13]
	v_rcp_f64_e32 v[22:23], v[20:21]
	v_nop
	s_delay_alu instid0(TRANS32_DEP_1) | instskip(NEXT) | instid1(VALU_DEP_1)
	v_fma_f64 v[26:27], -v[20:21], v[22:23], 1.0
	v_fmac_f64_e32 v[22:23], v[22:23], v[26:27]
	s_delay_alu instid0(VALU_DEP_1) | instskip(NEXT) | instid1(VALU_DEP_1)
	v_fma_f64 v[26:27], -v[20:21], v[22:23], 1.0
	v_fmac_f64_e32 v[22:23], v[22:23], v[26:27]
	s_delay_alu instid0(VALU_DEP_1) | instskip(NEXT) | instid1(VALU_DEP_1)
	v_mul_f64_e32 v[18:19], v[12:13], v[22:23]
	v_fma_f64 v[12:13], -v[20:21], v[18:19], v[12:13]
	s_delay_alu instid0(VALU_DEP_1) | instskip(NEXT) | instid1(VALU_DEP_1)
	v_div_fmas_f64 v[12:13], v[12:13], v[22:23], v[18:19]
	v_div_fixup_f64 v[12:13], v[12:13], |v[14:15]|, |v[16:17]|
	s_delay_alu instid0(VALU_DEP_1) | instskip(NEXT) | instid1(VALU_DEP_1)
	v_fma_f64 v[12:13], v[12:13], v[12:13], 1.0
	v_cmp_gt_f64_e32 vcc_lo, 0x10000000, v[12:13]
	s_and_b32 s4, vcc_lo, exec_lo
	s_cselect_b32 s4, 0x100, 0
	s_delay_alu instid0(SALU_CYCLE_1) | instskip(SKIP_1) | instid1(VALU_DEP_1)
	v_ldexp_f64 v[12:13], v[12:13], s4
	s_cselect_b32 s4, 0xffffff80, 0
	v_rsq_f64_e32 v[16:17], v[12:13]
	v_cmp_class_f64_e64 vcc_lo, v[12:13], 0x260
	s_delay_alu instid0(TRANS32_DEP_1) | instskip(SKIP_1) | instid1(VALU_DEP_1)
	v_mul_f64_e32 v[18:19], v[12:13], v[16:17]
	v_mul_f64_e32 v[16:17], 0.5, v[16:17]
	v_fma_f64 v[20:21], -v[16:17], v[18:19], 0.5
	s_delay_alu instid0(VALU_DEP_1) | instskip(SKIP_1) | instid1(VALU_DEP_2)
	v_fmac_f64_e32 v[18:19], v[18:19], v[20:21]
	v_fmac_f64_e32 v[16:17], v[16:17], v[20:21]
	v_fma_f64 v[20:21], -v[18:19], v[18:19], v[12:13]
	s_delay_alu instid0(VALU_DEP_1) | instskip(NEXT) | instid1(VALU_DEP_1)
	v_fmac_f64_e32 v[18:19], v[20:21], v[16:17]
	v_fma_f64 v[20:21], -v[18:19], v[18:19], v[12:13]
	s_delay_alu instid0(VALU_DEP_1) | instskip(NEXT) | instid1(VALU_DEP_1)
	v_fmac_f64_e32 v[18:19], v[20:21], v[16:17]
	v_ldexp_f64 v[16:17], v[18:19], s4
	s_delay_alu instid0(VALU_DEP_1) | instskip(NEXT) | instid1(VALU_DEP_1)
	v_dual_cndmask_b32 v13, v17, v13 :: v_dual_cndmask_b32 v12, v16, v12
	v_mul_f64_e64 v[12:13], |v[14:15]|, v[12:13]
.LBB9_86:                               ;   in Loop: Header=BB9_54 Depth=2
	v_add_f64_e32 v[16:17], v[6:7], v[10:11]
	v_cmp_gt_f64_e64 vcc_lo, |v[6:7]|, |v[10:11]|
	s_delay_alu instid0(VALU_DEP_2)
	v_cmp_ngt_f64_e64 s4, 0, v[16:17]
	v_dual_cndmask_b32 v15, v7, v11 :: v_dual_cndmask_b32 v14, v6, v10
	v_dual_cndmask_b32 v7, v11, v7 :: v_dual_cndmask_b32 v6, v10, v6
	s_and_b32 vcc_lo, exec_lo, s4
	s_cbranch_vccz .LBB9_89
; %bb.87:                               ;   in Loop: Header=BB9_54 Depth=2
	v_cmp_nlt_f64_e32 vcc_lo, 0, v[16:17]
	s_cbranch_vccz .LBB9_90
; %bb.88:                               ;   in Loop: Header=BB9_54 Depth=2
	s_wait_xcnt 0x0
	v_mul_f64_e32 v[10:11], 0.5, v[12:13]
	v_mul_f64_e32 v[18:19], -0.5, v[12:13]
	s_cbranch_execz .LBB9_91
	s_branch .LBB9_92
.LBB9_89:                               ;   in Loop: Header=BB9_54 Depth=2
                                        ; implicit-def: $vgpr18_vgpr19
                                        ; implicit-def: $vgpr10_vgpr11
	s_branch .LBB9_93
.LBB9_90:                               ;   in Loop: Header=BB9_54 Depth=2
                                        ; implicit-def: $vgpr18_vgpr19
                                        ; implicit-def: $vgpr10_vgpr11
.LBB9_91:                               ;   in Loop: Header=BB9_54 Depth=2
	s_wait_xcnt 0x0
	v_add_f64_e32 v[10:11], v[16:17], v[12:13]
	s_delay_alu instid0(VALU_DEP_1) | instskip(NEXT) | instid1(VALU_DEP_1)
	v_mul_f64_e32 v[10:11], 0.5, v[10:11]
	v_div_scale_f64 v[18:19], null, v[10:11], v[10:11], v[6:7]
	v_div_scale_f64 v[20:21], null, v[10:11], v[10:11], v[8:9]
	v_div_scale_f64 v[32:33], vcc_lo, v[6:7], v[10:11], v[6:7]
	s_delay_alu instid0(VALU_DEP_3) | instskip(NEXT) | instid1(VALU_DEP_2)
	v_rcp_f64_e32 v[22:23], v[18:19]
	v_rcp_f64_e32 v[26:27], v[20:21]
	s_delay_alu instid0(TRANS32_DEP_2) | instskip(NEXT) | instid1(TRANS32_DEP_1)
	v_fma_f64 v[28:29], -v[18:19], v[22:23], 1.0
	v_fma_f64 v[30:31], -v[20:21], v[26:27], 1.0
	s_delay_alu instid0(VALU_DEP_2) | instskip(NEXT) | instid1(VALU_DEP_2)
	v_fmac_f64_e32 v[22:23], v[22:23], v[28:29]
	v_fmac_f64_e32 v[26:27], v[26:27], v[30:31]
	s_delay_alu instid0(VALU_DEP_2) | instskip(NEXT) | instid1(VALU_DEP_2)
	v_fma_f64 v[28:29], -v[18:19], v[22:23], 1.0
	v_fma_f64 v[30:31], -v[20:21], v[26:27], 1.0
	s_delay_alu instid0(VALU_DEP_2) | instskip(SKIP_1) | instid1(VALU_DEP_3)
	v_fmac_f64_e32 v[22:23], v[22:23], v[28:29]
	v_div_scale_f64 v[28:29], s4, v[8:9], v[10:11], v[8:9]
	v_fmac_f64_e32 v[26:27], v[26:27], v[30:31]
	s_delay_alu instid0(VALU_DEP_3) | instskip(NEXT) | instid1(VALU_DEP_2)
	v_mul_f64_e32 v[30:31], v[32:33], v[22:23]
	v_mul_f64_e32 v[34:35], v[28:29], v[26:27]
	s_delay_alu instid0(VALU_DEP_2) | instskip(NEXT) | instid1(VALU_DEP_2)
	v_fma_f64 v[18:19], -v[18:19], v[30:31], v[32:33]
	v_fma_f64 v[20:21], -v[20:21], v[34:35], v[28:29]
	s_delay_alu instid0(VALU_DEP_2) | instskip(SKIP_1) | instid1(VALU_DEP_2)
	v_div_fmas_f64 v[18:19], v[18:19], v[22:23], v[30:31]
	s_mov_b32 vcc_lo, s4
	v_div_fmas_f64 v[20:21], v[20:21], v[26:27], v[34:35]
	s_delay_alu instid0(VALU_DEP_2) | instskip(NEXT) | instid1(VALU_DEP_2)
	v_div_fixup_f64 v[18:19], v[18:19], v[10:11], v[6:7]
	v_div_fixup_f64 v[20:21], v[20:21], v[10:11], v[8:9]
	s_delay_alu instid0(VALU_DEP_1) | instskip(NEXT) | instid1(VALU_DEP_1)
	v_mul_f64_e32 v[20:21], v[8:9], v[20:21]
	v_fma_f64 v[18:19], v[14:15], v[18:19], -v[20:21]
.LBB9_92:                               ;   in Loop: Header=BB9_54 Depth=2
	s_cbranch_execnz .LBB9_94
.LBB9_93:                               ;   in Loop: Header=BB9_54 Depth=2
	s_wait_xcnt 0x0
	v_add_f64_e64 v[10:11], v[16:17], -v[12:13]
	s_delay_alu instid0(VALU_DEP_1) | instskip(NEXT) | instid1(VALU_DEP_1)
	v_mul_f64_e32 v[10:11], 0.5, v[10:11]
	v_div_scale_f64 v[12:13], null, v[10:11], v[10:11], v[6:7]
	v_div_scale_f64 v[16:17], null, v[10:11], v[10:11], v[8:9]
	v_div_scale_f64 v[28:29], vcc_lo, v[6:7], v[10:11], v[6:7]
	s_delay_alu instid0(VALU_DEP_3) | instskip(NEXT) | instid1(VALU_DEP_2)
	v_rcp_f64_e32 v[18:19], v[12:13]
	v_rcp_f64_e32 v[20:21], v[16:17]
	s_delay_alu instid0(TRANS32_DEP_2) | instskip(NEXT) | instid1(TRANS32_DEP_1)
	v_fma_f64 v[22:23], -v[12:13], v[18:19], 1.0
	v_fma_f64 v[26:27], -v[16:17], v[20:21], 1.0
	s_delay_alu instid0(VALU_DEP_2) | instskip(NEXT) | instid1(VALU_DEP_2)
	v_fmac_f64_e32 v[18:19], v[18:19], v[22:23]
	v_fmac_f64_e32 v[20:21], v[20:21], v[26:27]
	s_delay_alu instid0(VALU_DEP_2) | instskip(NEXT) | instid1(VALU_DEP_2)
	v_fma_f64 v[22:23], -v[12:13], v[18:19], 1.0
	v_fma_f64 v[26:27], -v[16:17], v[20:21], 1.0
	s_delay_alu instid0(VALU_DEP_2) | instskip(SKIP_1) | instid1(VALU_DEP_3)
	v_fmac_f64_e32 v[18:19], v[18:19], v[22:23]
	v_div_scale_f64 v[22:23], s4, v[8:9], v[10:11], v[8:9]
	v_fmac_f64_e32 v[20:21], v[20:21], v[26:27]
	s_delay_alu instid0(VALU_DEP_3) | instskip(NEXT) | instid1(VALU_DEP_2)
	v_mul_f64_e32 v[26:27], v[28:29], v[18:19]
	v_mul_f64_e32 v[30:31], v[22:23], v[20:21]
	s_delay_alu instid0(VALU_DEP_2) | instskip(NEXT) | instid1(VALU_DEP_2)
	v_fma_f64 v[12:13], -v[12:13], v[26:27], v[28:29]
	v_fma_f64 v[16:17], -v[16:17], v[30:31], v[22:23]
	s_delay_alu instid0(VALU_DEP_2) | instskip(SKIP_1) | instid1(VALU_DEP_2)
	v_div_fmas_f64 v[12:13], v[12:13], v[18:19], v[26:27]
	s_mov_b32 vcc_lo, s4
	v_div_fmas_f64 v[16:17], v[16:17], v[20:21], v[30:31]
	s_delay_alu instid0(VALU_DEP_2) | instskip(NEXT) | instid1(VALU_DEP_2)
	v_div_fixup_f64 v[6:7], v[12:13], v[10:11], v[6:7]
	v_div_fixup_f64 v[16:17], v[16:17], v[10:11], v[8:9]
	s_delay_alu instid0(VALU_DEP_1) | instskip(NEXT) | instid1(VALU_DEP_1)
	v_mul_f64_e32 v[8:9], v[8:9], v[16:17]
	v_fma_f64 v[18:19], v[14:15], v[6:7], -v[8:9]
.LBB9_94:                               ;   in Loop: Header=BB9_54 Depth=2
	s_ashr_i32 s45, s44, 31
	global_store_b64 v24, v[10:11], s[46:47]
	s_lshl_b64 s[44:45], s[44:45], 3
	s_add_co_i32 s42, s42, 2
	s_add_nc_u64 s[44:45], s[6:7], s[44:45]
	s_clause 0x1
	global_store_b64 v24, v[18:19], s[44:45]
	global_store_b64 v24, v[2:3], s[48:49]
	s_cbranch_execz .LBB9_53
	s_branch .LBB9_99
.LBB9_95:                               ;   in Loop: Header=BB9_54 Depth=2
	s_wait_xcnt 0x0
	v_mov_b64_e32 v[14:15], v[18:19]
.LBB9_96:                               ;   in Loop: Header=BB9_54 Depth=2
	s_delay_alu instid0(VALU_DEP_1)
	v_mov_b64_e32 v[16:17], v[10:11]
.LBB9_97:                               ;   in Loop: Header=BB9_54 Depth=2
	s_delay_alu instid0(VALU_DEP_1) | instskip(NEXT) | instid1(VALU_DEP_3)
	v_mul_f64_e32 v[10:11], v[12:13], v[16:17]
	v_add_f64_e32 v[8:9], v[8:9], v[14:15]
	s_add_co_i32 s43, s59, 1
	s_mov_b32 s4, -1
	s_clause 0x1
	global_store_b64 v24, v[10:11], s[50:51]
	global_store_b64 v24, v[8:9], s[46:47]
	s_and_b32 vcc_lo, exec_lo, s41
	s_cbranch_vccnz .LBB9_78
.LBB9_98:                               ;   in Loop: Header=BB9_54 Depth=2
	s_mov_b32 s59, s43
	s_and_b32 vcc_lo, exec_lo, s4
	s_cbranch_vccz .LBB9_53
.LBB9_99:                               ;   in Loop: Header=BB9_54 Depth=2
	s_cmp_gt_i32 s42, s31
	s_cselect_b32 s4, -1, 0
	s_cmp_ge_i32 s59, s56
	s_cselect_b32 s5, -1, 0
	s_delay_alu instid0(SALU_CYCLE_1)
	s_or_b32 s5, s4, s5
	s_branch .LBB9_53
.LBB9_100:                              ;   in Loop: Header=BB9_101 Depth=2
	s_and_not1_b32 vcc_lo, exec_lo, s41
	s_cbranch_vccz .LBB9_43
.LBB9_101:                              ;   Parent Loop BB9_3 Depth=1
                                        ; =>  This Loop Header: Depth=2
                                        ;       Child Loop BB9_103 Depth 3
                                        ;       Child Loop BB9_116 Depth 3
	s_ashr_i32 s41, s40, 31
	s_wait_xcnt 0x0
	s_min_i32 s4, s31, s40
	s_wait_xcnt 0x1
	s_lshl_b64 s[44:45], s[40:41], 3
	s_mov_b32 s3, s40
	s_wait_xcnt 0x0
	s_add_nc_u64 s[46:47], s[6:7], s[44:45]
	s_add_nc_u64 s[42:43], s[26:27], s[44:45]
	s_mov_b32 s5, -1
	s_cmp_le_i32 s3, s31
	s_mov_b32 s48, -1
                                        ; implicit-def: $sgpr41
	s_cbranch_scc1 .LBB9_103
.LBB9_102:                              ;   in Loop: Header=BB9_101 Depth=2
	s_wait_loadcnt 0x0
	s_clause 0x1
	global_load_b128 v[6:9], v24, s[46:47] offset:-8
	global_load_b64 v[10:11], v24, s[42:43] offset:-16
	s_add_co_i32 s41, s3, -1
	s_wait_xcnt 0x1
	s_add_nc_u64 s[46:47], s[46:47], -8
	s_wait_xcnt 0x0
	s_add_nc_u64 s[42:43], s[42:43], -8
	s_mov_b32 s5, 0
	s_wait_loadcnt 0x1
	v_mul_f64_e32 v[6:7], v[8:9], v[6:7]
	s_delay_alu instid0(VALU_DEP_1) | instskip(SKIP_1) | instid1(VALU_DEP_1)
	v_mul_f64_e64 v[6:7], v[0:1], |v[6:7]|
	s_wait_loadcnt 0x0
	v_cmp_le_f64_e64 s48, |v[10:11]|, v[6:7]
.LBB9_103:                              ;   Parent Loop BB9_3 Depth=1
                                        ;     Parent Loop BB9_101 Depth=2
                                        ; =>    This Inner Loop Header: Depth=3
	s_delay_alu instid0(VALU_DEP_1)
	s_and_not1_b32 vcc_lo, exec_lo, s48
	s_cbranch_vccz .LBB9_105
; %bb.104:                              ;   in Loop: Header=BB9_103 Depth=3
	s_mov_b32 s3, s41
	s_mov_b32 s5, -1
	s_cmp_le_i32 s3, s31
	s_mov_b32 s48, -1
                                        ; implicit-def: $sgpr41
	s_cbranch_scc0 .LBB9_102
	s_branch .LBB9_103
.LBB9_105:                              ;   in Loop: Header=BB9_101 Depth=2
	s_and_not1_b32 vcc_lo, exec_lo, s5
	s_cbranch_vccz .LBB9_107
; %bb.106:                              ;   in Loop: Header=BB9_101 Depth=2
	s_mov_b32 s4, s3
	global_store_b64 v24, v[2:3], s[42:43] offset:-8
.LBB9_107:                              ;   in Loop: Header=BB9_101 Depth=2
	s_add_co_i32 s3, s40, -1
	s_cmp_eq_u32 s4, s40
	s_mov_b32 s41, -1
	s_cbranch_scc1 .LBB9_122
; %bb.108:                              ;   in Loop: Header=BB9_101 Depth=2
	s_wait_xcnt 0x0
	s_add_nc_u64 s[42:43], s[6:7], s[44:45]
	s_cmp_lg_u32 s4, s3
	s_wait_loadcnt 0x0
	global_load_b64 v[6:7], v24, s[42:43]
	s_cbranch_scc0 .LBB9_123
; %bb.109:                              ;   in Loop: Header=BB9_101 Depth=2
	s_mov_b32 s50, 0
	s_cmp_lg_u32 s58, s56
	s_mov_b32 s5, s56
	s_mov_b32 s3, 0
	s_cbranch_scc0 .LBB9_124
; %bb.110:                              ;   in Loop: Header=BB9_101 Depth=2
	s_add_nc_u64 s[44:45], s[10:11], s[44:45]
	s_clause 0x1
	global_load_b64 v[8:9], v24, s[44:45] offset:-8
	global_load_b64 v[10:11], v24, s[42:43] offset:-8
	s_wait_loadcnt 0x1
	v_cmp_gt_f64_e32 vcc_lo, 0x10000000, v[8:9]
	s_wait_loadcnt 0x0
	v_add_f64_e64 v[10:11], v[10:11], -v[6:7]
	s_and_b32 s3, vcc_lo, exec_lo
	s_cselect_b32 s3, 0x100, 0
	s_delay_alu instid0(SALU_CYCLE_1) | instskip(SKIP_1) | instid1(VALU_DEP_1)
	v_ldexp_f64 v[8:9], v[8:9], s3
	s_cselect_b32 s3, 0xffffff80, 0
	v_rsq_f64_e32 v[12:13], v[8:9]
	v_cmp_class_f64_e64 vcc_lo, v[8:9], 0x260
	s_delay_alu instid0(TRANS32_DEP_1) | instskip(SKIP_1) | instid1(VALU_DEP_1)
	v_mul_f64_e32 v[14:15], v[8:9], v[12:13]
	v_mul_f64_e32 v[12:13], 0.5, v[12:13]
	v_fma_f64 v[16:17], -v[12:13], v[14:15], 0.5
	s_delay_alu instid0(VALU_DEP_1) | instskip(SKIP_1) | instid1(VALU_DEP_2)
	v_fmac_f64_e32 v[14:15], v[14:15], v[16:17]
	v_fmac_f64_e32 v[12:13], v[12:13], v[16:17]
	v_fma_f64 v[16:17], -v[14:15], v[14:15], v[8:9]
	s_delay_alu instid0(VALU_DEP_1) | instskip(NEXT) | instid1(VALU_DEP_1)
	v_fmac_f64_e32 v[14:15], v[16:17], v[12:13]
	v_fma_f64 v[16:17], -v[14:15], v[14:15], v[8:9]
	s_delay_alu instid0(VALU_DEP_1) | instskip(NEXT) | instid1(VALU_DEP_1)
	v_fmac_f64_e32 v[14:15], v[16:17], v[12:13]
	v_ldexp_f64 v[12:13], v[14:15], s3
	s_delay_alu instid0(VALU_DEP_1) | instskip(NEXT) | instid1(VALU_DEP_1)
	v_dual_cndmask_b32 v9, v13, v9 :: v_dual_cndmask_b32 v8, v12, v8
	v_add_f64_e32 v[12:13], v[8:9], v[8:9]
	s_delay_alu instid0(VALU_DEP_1) | instskip(SKIP_1) | instid1(VALU_DEP_2)
	v_div_scale_f64 v[14:15], null, v[12:13], v[12:13], v[10:11]
	v_div_scale_f64 v[20:21], vcc_lo, v[10:11], v[12:13], v[10:11]
	v_rcp_f64_e32 v[16:17], v[14:15]
	v_nop
	s_delay_alu instid0(TRANS32_DEP_1) | instskip(NEXT) | instid1(VALU_DEP_1)
	v_fma_f64 v[18:19], -v[14:15], v[16:17], 1.0
	v_fmac_f64_e32 v[16:17], v[16:17], v[18:19]
	s_delay_alu instid0(VALU_DEP_1) | instskip(NEXT) | instid1(VALU_DEP_1)
	v_fma_f64 v[18:19], -v[14:15], v[16:17], 1.0
	v_fmac_f64_e32 v[16:17], v[16:17], v[18:19]
	s_delay_alu instid0(VALU_DEP_1) | instskip(NEXT) | instid1(VALU_DEP_1)
	v_mul_f64_e32 v[18:19], v[20:21], v[16:17]
	v_fma_f64 v[14:15], -v[14:15], v[18:19], v[20:21]
	s_delay_alu instid0(VALU_DEP_1) | instskip(NEXT) | instid1(VALU_DEP_1)
	v_div_fmas_f64 v[14:15], v[14:15], v[16:17], v[18:19]
	v_div_fixup_f64 v[10:11], v[14:15], v[12:13], v[10:11]
	s_delay_alu instid0(VALU_DEP_1) | instskip(NEXT) | instid1(VALU_DEP_1)
	v_fma_f64 v[12:13], v[10:11], v[10:11], 1.0
	v_cmp_gt_f64_e32 vcc_lo, 0x10000000, v[12:13]
	s_and_b32 s3, vcc_lo, exec_lo
	s_cselect_b32 s3, 0x100, 0
	s_delay_alu instid0(SALU_CYCLE_1) | instskip(SKIP_2) | instid1(VALU_DEP_1)
	v_ldexp_f64 v[12:13], v[12:13], s3
	s_cselect_b32 s3, 0xffffff80, 0
	s_cmp_ge_i32 s4, s40
	v_rsq_f64_e32 v[14:15], v[12:13]
	v_cmp_class_f64_e64 vcc_lo, v[12:13], 0x260
	s_delay_alu instid0(TRANS32_DEP_1) | instskip(SKIP_1) | instid1(VALU_DEP_1)
	v_mul_f64_e32 v[16:17], v[12:13], v[14:15]
	v_mul_f64_e32 v[14:15], 0.5, v[14:15]
	v_fma_f64 v[18:19], -v[14:15], v[16:17], 0.5
	s_delay_alu instid0(VALU_DEP_1) | instskip(SKIP_1) | instid1(VALU_DEP_2)
	v_fmac_f64_e32 v[16:17], v[16:17], v[18:19]
	v_fmac_f64_e32 v[14:15], v[14:15], v[18:19]
	v_fma_f64 v[18:19], -v[16:17], v[16:17], v[12:13]
	s_delay_alu instid0(VALU_DEP_1) | instskip(NEXT) | instid1(VALU_DEP_1)
	v_fmac_f64_e32 v[16:17], v[18:19], v[14:15]
	v_fma_f64 v[18:19], -v[16:17], v[16:17], v[12:13]
	s_delay_alu instid0(VALU_DEP_1) | instskip(NEXT) | instid1(VALU_DEP_1)
	v_fmac_f64_e32 v[16:17], v[18:19], v[14:15]
	v_ldexp_f64 v[14:15], v[16:17], s3
	v_mov_b32_e32 v16, s4
	global_load_b64 v[16:17], v16, s[6:7] scale_offset
	v_cndmask_b32_e32 v13, v15, v13, vcc_lo
	s_delay_alu instid0(VALU_DEP_1) | instskip(SKIP_3) | instid1(VALU_DEP_3)
	v_and_b32_e32 v15, 0x7fffffff, v13
	v_or_b32_e32 v13, 0x80000000, v13
	v_cndmask_b32_e32 v12, v14, v12, vcc_lo
	v_cmp_nle_f64_e32 vcc_lo, 0, v[10:11]
	v_cndmask_b32_e32 v13, v15, v13, vcc_lo
	s_delay_alu instid0(VALU_DEP_1) | instskip(NEXT) | instid1(VALU_DEP_1)
	v_add_f64_e32 v[10:11], v[10:11], v[12:13]
	v_div_scale_f64 v[12:13], null, v[10:11], v[10:11], v[8:9]
	s_delay_alu instid0(VALU_DEP_1) | instskip(SKIP_1) | instid1(TRANS32_DEP_1)
	v_rcp_f64_e32 v[14:15], v[12:13]
	v_nop
	v_fma_f64 v[18:19], -v[12:13], v[14:15], 1.0
	s_delay_alu instid0(VALU_DEP_1) | instskip(NEXT) | instid1(VALU_DEP_1)
	v_fmac_f64_e32 v[14:15], v[14:15], v[18:19]
	v_fma_f64 v[18:19], -v[12:13], v[14:15], 1.0
	s_delay_alu instid0(VALU_DEP_1) | instskip(SKIP_1) | instid1(VALU_DEP_1)
	v_fmac_f64_e32 v[14:15], v[14:15], v[18:19]
	v_div_scale_f64 v[18:19], vcc_lo, v[8:9], v[10:11], v[8:9]
	v_mul_f64_e32 v[20:21], v[18:19], v[14:15]
	s_delay_alu instid0(VALU_DEP_1) | instskip(NEXT) | instid1(VALU_DEP_1)
	v_fma_f64 v[12:13], -v[12:13], v[20:21], v[18:19]
	v_div_fmas_f64 v[12:13], v[12:13], v[14:15], v[20:21]
	s_delay_alu instid0(VALU_DEP_1) | instskip(SKIP_1) | instid1(VALU_DEP_2)
	v_div_fixup_f64 v[8:9], v[12:13], v[10:11], v[8:9]
	v_mov_b64_e32 v[12:13], 0
	v_add_f64_e64 v[8:9], v[6:7], -v[8:9]
	s_wait_loadcnt 0x0
	s_delay_alu instid0(VALU_DEP_1) | instskip(SKIP_1) | instid1(VALU_DEP_1)
	v_add_f64_e64 v[14:15], v[16:17], -v[8:9]
	s_wait_xcnt 0x0
	v_mul_f64_e32 v[16:17], v[14:15], v[14:15]
	s_cbranch_scc1 .LBB9_144
; %bb.111:                              ;   in Loop: Header=BB9_101 Depth=2
	s_ashr_i32 s5, s4, 31
	s_delay_alu instid0(SALU_CYCLE_1) | instskip(NEXT) | instid1(SALU_CYCLE_1)
	s_lshl_b64 s[46:47], s[4:5], 3
	s_add_nc_u64 s[48:49], s[10:11], s[46:47]
	s_add_nc_u64 s[46:47], s[6:7], s[46:47]
	s_clause 0x1
	global_load_b64 v[10:11], v24, s[48:49]
	global_load_b64 v[20:21], v24, s[46:47] offset:8
	s_wait_loadcnt 0x1
	v_add_f64_e32 v[18:19], v[16:17], v[10:11]
	s_delay_alu instid0(VALU_DEP_1) | instskip(SKIP_2) | instid1(VALU_DEP_3)
	v_div_scale_f64 v[12:13], null, v[18:19], v[18:19], v[16:17]
	v_div_scale_f64 v[22:23], null, v[18:19], v[18:19], v[10:11]
	v_div_scale_f64 v[34:35], vcc_lo, v[16:17], v[18:19], v[16:17]
	v_rcp_f64_e32 v[26:27], v[12:13]
	s_delay_alu instid0(VALU_DEP_2) | instskip(NEXT) | instid1(TRANS32_DEP_2)
	v_rcp_f64_e32 v[28:29], v[22:23]
	v_fma_f64 v[30:31], -v[12:13], v[26:27], 1.0
	s_delay_alu instid0(TRANS32_DEP_1) | instskip(NEXT) | instid1(VALU_DEP_2)
	v_fma_f64 v[32:33], -v[22:23], v[28:29], 1.0
	v_fmac_f64_e32 v[26:27], v[26:27], v[30:31]
	s_delay_alu instid0(VALU_DEP_2) | instskip(NEXT) | instid1(VALU_DEP_2)
	v_fmac_f64_e32 v[28:29], v[28:29], v[32:33]
	v_fma_f64 v[30:31], -v[12:13], v[26:27], 1.0
	s_delay_alu instid0(VALU_DEP_2) | instskip(NEXT) | instid1(VALU_DEP_2)
	v_fma_f64 v[32:33], -v[22:23], v[28:29], 1.0
	v_fmac_f64_e32 v[26:27], v[26:27], v[30:31]
	v_div_scale_f64 v[30:31], s3, v[10:11], v[18:19], v[10:11]
	s_delay_alu instid0(VALU_DEP_3) | instskip(NEXT) | instid1(VALU_DEP_3)
	v_fmac_f64_e32 v[28:29], v[28:29], v[32:33]
	v_mul_f64_e32 v[32:33], v[34:35], v[26:27]
	s_delay_alu instid0(VALU_DEP_2) | instskip(NEXT) | instid1(VALU_DEP_2)
	v_mul_f64_e32 v[36:37], v[30:31], v[28:29]
	v_fma_f64 v[12:13], -v[12:13], v[32:33], v[34:35]
	s_delay_alu instid0(VALU_DEP_2) | instskip(NEXT) | instid1(VALU_DEP_2)
	v_fma_f64 v[22:23], -v[22:23], v[36:37], v[30:31]
	v_div_fmas_f64 v[26:27], v[12:13], v[26:27], v[32:33]
	s_mov_b32 vcc_lo, s3
	s_delay_alu instid0(VALU_DEP_2) | instskip(SKIP_2) | instid1(VALU_DEP_3)
	v_div_fmas_f64 v[12:13], v[22:23], v[28:29], v[36:37]
	s_wait_loadcnt 0x0
	v_add_f64_e64 v[22:23], v[20:21], -v[8:9]
	v_div_fixup_f64 v[16:17], v[26:27], v[18:19], v[16:17]
	s_delay_alu instid0(VALU_DEP_3) | instskip(NEXT) | instid1(VALU_DEP_2)
	v_div_fixup_f64 v[12:13], v[12:13], v[18:19], v[10:11]
	v_cmp_eq_f64_e32 vcc_lo, 0, v[16:17]
	s_delay_alu instid0(VALU_DEP_2) | instskip(SKIP_1) | instid1(VALU_DEP_1)
	v_mul_f64_e32 v[18:19], v[14:15], v[12:13]
	s_and_b32 vcc_lo, exec_lo, vcc_lo
	v_fma_f64 v[18:19], v[16:17], v[22:23], -v[18:19]
	s_delay_alu instid0(VALU_DEP_1) | instskip(NEXT) | instid1(VALU_DEP_1)
	v_add_f64_e64 v[20:21], v[20:21], -v[18:19]
	v_add_f64_e32 v[14:15], v[14:15], v[20:21]
	global_store_b64 v24, v[14:15], s[46:47]
	s_cbranch_vccnz .LBB9_113
; %bb.112:                              ;   in Loop: Header=BB9_101 Depth=2
	v_mul_f64_e32 v[10:11], v[18:19], v[18:19]
	s_wait_xcnt 0x0
	s_delay_alu instid0(VALU_DEP_1) | instskip(NEXT) | instid1(VALU_DEP_1)
	v_div_scale_f64 v[14:15], null, v[16:17], v[16:17], v[10:11]
	v_rcp_f64_e32 v[20:21], v[14:15]
	v_nop
	s_delay_alu instid0(TRANS32_DEP_1) | instskip(NEXT) | instid1(VALU_DEP_1)
	v_fma_f64 v[22:23], -v[14:15], v[20:21], 1.0
	v_fmac_f64_e32 v[20:21], v[20:21], v[22:23]
	s_delay_alu instid0(VALU_DEP_1) | instskip(NEXT) | instid1(VALU_DEP_1)
	v_fma_f64 v[22:23], -v[14:15], v[20:21], 1.0
	v_fmac_f64_e32 v[20:21], v[20:21], v[22:23]
	v_div_scale_f64 v[22:23], vcc_lo, v[10:11], v[16:17], v[10:11]
	s_delay_alu instid0(VALU_DEP_1) | instskip(NEXT) | instid1(VALU_DEP_1)
	v_mul_f64_e32 v[26:27], v[22:23], v[20:21]
	v_fma_f64 v[14:15], -v[14:15], v[26:27], v[22:23]
	s_delay_alu instid0(VALU_DEP_1) | instskip(NEXT) | instid1(VALU_DEP_1)
	v_div_fmas_f64 v[14:15], v[14:15], v[20:21], v[26:27]
	v_div_fixup_f64 v[10:11], v[14:15], v[16:17], v[10:11]
.LBB9_113:                              ;   in Loop: Header=BB9_101 Depth=2
	s_wait_xcnt 0x0
	s_add_co_i32 s46, s4, 1
	s_delay_alu instid0(SALU_CYCLE_1)
	s_cmp_ge_i32 s46, s40
	s_cbranch_scc1 .LBB9_142
; %bb.114:                              ;   in Loop: Header=BB9_101 Depth=2
	s_ashr_i32 s47, s46, 31
	s_mov_b32 s5, 1
	s_lshl_b64 s[48:49], s[46:47], 3
	s_delay_alu instid0(SALU_CYCLE_1)
	s_add_nc_u64 s[46:47], s[8:9], s[48:49]
	s_add_nc_u64 s[48:49], s[24:25], s[48:49]
	global_load_b64 v[20:21], v24, s[46:47]
	s_cmp_eq_u32 s5, 0
	s_wait_loadcnt 0x0
	v_add_f64_e32 v[14:15], v[10:11], v[20:21]
	s_cbranch_scc1 .LBB9_116
.LBB9_115:                              ;   in Loop: Header=BB9_101 Depth=2
	s_delay_alu instid0(VALU_DEP_1)
	v_mul_f64_e32 v[12:13], v[12:13], v[14:15]
	global_store_b64 v24, v[12:13], s[46:47] offset:-8
.LBB9_116:                              ;   Parent Loop BB9_3 Depth=1
                                        ;     Parent Loop BB9_101 Depth=2
                                        ; =>    This Inner Loop Header: Depth=3
	s_wait_xcnt 0x0
	s_delay_alu instid0(VALU_DEP_1)
	v_div_scale_f64 v[12:13], null, v[14:15], v[14:15], v[10:11]
	v_div_scale_f64 v[22:23], null, v[14:15], v[14:15], v[20:21]
	global_load_b64 v[26:27], v24, s[48:49]
	v_div_scale_f64 v[36:37], vcc_lo, v[10:11], v[14:15], v[10:11]
	v_rcp_f64_e32 v[28:29], v[12:13]
	v_rcp_f64_e32 v[30:31], v[22:23]
	s_delay_alu instid0(TRANS32_DEP_2) | instskip(NEXT) | instid1(TRANS32_DEP_1)
	v_fma_f64 v[32:33], -v[12:13], v[28:29], 1.0
	v_fma_f64 v[34:35], -v[22:23], v[30:31], 1.0
	s_delay_alu instid0(VALU_DEP_2) | instskip(NEXT) | instid1(VALU_DEP_2)
	v_fmac_f64_e32 v[28:29], v[28:29], v[32:33]
	v_fmac_f64_e32 v[30:31], v[30:31], v[34:35]
	s_delay_alu instid0(VALU_DEP_2) | instskip(NEXT) | instid1(VALU_DEP_2)
	v_fma_f64 v[32:33], -v[12:13], v[28:29], 1.0
	v_fma_f64 v[34:35], -v[22:23], v[30:31], 1.0
	s_delay_alu instid0(VALU_DEP_2) | instskip(SKIP_1) | instid1(VALU_DEP_3)
	v_fmac_f64_e32 v[28:29], v[28:29], v[32:33]
	v_div_scale_f64 v[32:33], s3, v[20:21], v[14:15], v[20:21]
	v_fmac_f64_e32 v[30:31], v[30:31], v[34:35]
	s_delay_alu instid0(VALU_DEP_3) | instskip(NEXT) | instid1(VALU_DEP_2)
	v_mul_f64_e32 v[34:35], v[36:37], v[28:29]
	v_mul_f64_e32 v[38:39], v[32:33], v[30:31]
	s_delay_alu instid0(VALU_DEP_2) | instskip(NEXT) | instid1(VALU_DEP_2)
	v_fma_f64 v[12:13], -v[12:13], v[34:35], v[36:37]
	v_fma_f64 v[22:23], -v[22:23], v[38:39], v[32:33]
	s_delay_alu instid0(VALU_DEP_2) | instskip(SKIP_1) | instid1(VALU_DEP_2)
	v_div_fmas_f64 v[28:29], v[12:13], v[28:29], v[34:35]
	s_mov_b32 vcc_lo, s3
	v_div_fmas_f64 v[12:13], v[22:23], v[30:31], v[38:39]
	s_delay_alu instid0(VALU_DEP_2) | instskip(NEXT) | instid1(VALU_DEP_2)
	v_div_fixup_f64 v[22:23], v[28:29], v[14:15], v[10:11]
	v_div_fixup_f64 v[12:13], v[12:13], v[14:15], v[20:21]
	s_wait_loadcnt 0x0
	v_add_f64_e64 v[10:11], v[26:27], -v[8:9]
	s_delay_alu instid0(VALU_DEP_3) | instskip(NEXT) | instid1(VALU_DEP_3)
	v_cmp_eq_f64_e32 vcc_lo, 0, v[22:23]
	v_mul_f64_e32 v[14:15], v[18:19], v[12:13]
	s_and_b32 vcc_lo, exec_lo, vcc_lo
	s_delay_alu instid0(VALU_DEP_1) | instskip(NEXT) | instid1(VALU_DEP_1)
	v_fma_f64 v[14:15], v[22:23], v[10:11], -v[14:15]
	v_add_f64_e64 v[10:11], v[26:27], -v[14:15]
	s_delay_alu instid0(VALU_DEP_1)
	v_add_f64_e32 v[10:11], v[18:19], v[10:11]
	global_store_b64 v24, v[10:11], s[48:49] offset:-8
	s_cbranch_vccz .LBB9_121
; %bb.117:                              ;   in Loop: Header=BB9_116 Depth=3
	s_wait_xcnt 0x0
	v_mul_f64_e32 v[10:11], v[16:17], v[20:21]
	s_cbranch_execnz .LBB9_119
.LBB9_118:                              ;   in Loop: Header=BB9_116 Depth=3
	s_wait_xcnt 0x0
	v_mul_f64_e32 v[10:11], v[14:15], v[14:15]
	s_delay_alu instid0(VALU_DEP_1) | instskip(NEXT) | instid1(VALU_DEP_1)
	v_div_scale_f64 v[16:17], null, v[22:23], v[22:23], v[10:11]
	v_rcp_f64_e32 v[18:19], v[16:17]
	v_nop
	s_delay_alu instid0(TRANS32_DEP_1) | instskip(NEXT) | instid1(VALU_DEP_1)
	v_fma_f64 v[20:21], -v[16:17], v[18:19], 1.0
	v_fmac_f64_e32 v[18:19], v[18:19], v[20:21]
	s_delay_alu instid0(VALU_DEP_1) | instskip(NEXT) | instid1(VALU_DEP_1)
	v_fma_f64 v[20:21], -v[16:17], v[18:19], 1.0
	v_fmac_f64_e32 v[18:19], v[18:19], v[20:21]
	v_div_scale_f64 v[20:21], vcc_lo, v[10:11], v[22:23], v[10:11]
	s_delay_alu instid0(VALU_DEP_1) | instskip(NEXT) | instid1(VALU_DEP_1)
	v_mul_f64_e32 v[26:27], v[20:21], v[18:19]
	v_fma_f64 v[16:17], -v[16:17], v[26:27], v[20:21]
	s_delay_alu instid0(VALU_DEP_1) | instskip(NEXT) | instid1(VALU_DEP_1)
	v_div_fmas_f64 v[16:17], v[16:17], v[18:19], v[26:27]
	v_div_fixup_f64 v[10:11], v[16:17], v[22:23], v[10:11]
.LBB9_119:                              ;   in Loop: Header=BB9_116 Depth=3
	s_add_co_i32 s5, s5, 1
	s_add_nc_u64 s[46:47], s[46:47], 8
	s_add_co_i32 s3, s4, s5
	s_wait_xcnt 0x0
	s_add_nc_u64 s[48:49], s[48:49], 8
	s_cmp_ge_i32 s3, s40
	s_cbranch_scc1 .LBB9_143
; %bb.120:                              ;   in Loop: Header=BB9_116 Depth=3
	v_mov_b64_e32 v[16:17], v[22:23]
	v_mov_b64_e32 v[18:19], v[14:15]
	global_load_b64 v[20:21], v24, s[46:47]
	s_cmp_eq_u32 s5, 0
	s_wait_loadcnt 0x0
	v_add_f64_e32 v[14:15], v[10:11], v[20:21]
	s_cbranch_scc0 .LBB9_115
	s_branch .LBB9_116
.LBB9_121:                              ;   in Loop: Header=BB9_116 Depth=3
                                        ; implicit-def: $vgpr10_vgpr11
	s_branch .LBB9_118
.LBB9_122:                              ;   in Loop: Header=BB9_101 Depth=2
	s_mov_b32 s40, s3
	s_cbranch_execz .LBB9_100
	s_branch .LBB9_146
.LBB9_123:                              ;   in Loop: Header=BB9_101 Depth=2
	s_mov_b32 s50, -1
	s_mov_b32 s3, 0
                                        ; implicit-def: $sgpr5
.LBB9_124:                              ;   in Loop: Header=BB9_101 Depth=2
	s_and_b32 vcc_lo, exec_lo, s50
	s_cbranch_vccz .LBB9_145
.LBB9_125:                              ;   in Loop: Header=BB9_101 Depth=2
	v_mov_b32_e32 v12, s4
	s_clause 0x1
	global_load_b64 v[8:9], v12, s[10:11] scale_offset
	global_load_b64 v[10:11], v12, s[6:7] scale_offset
	s_wait_loadcnt 0x1
	v_cmp_gt_f64_e32 vcc_lo, 0x10000000, v[8:9]
	s_and_b32 s3, vcc_lo, exec_lo
	s_cselect_b32 s3, 0x100, 0
	s_delay_alu instid0(SALU_CYCLE_1) | instskip(SKIP_2) | instid1(VALU_DEP_1)
	v_ldexp_f64 v[8:9], v[8:9], s3
	s_cselect_b32 s3, 0xffffff80, 0
	s_wait_xcnt 0x0
	v_rsq_f64_e32 v[12:13], v[8:9]
	v_cmp_class_f64_e64 vcc_lo, v[8:9], 0x260
	s_delay_alu instid0(TRANS32_DEP_1) | instskip(SKIP_1) | instid1(VALU_DEP_1)
	v_mul_f64_e32 v[14:15], v[8:9], v[12:13]
	v_mul_f64_e32 v[12:13], 0.5, v[12:13]
	v_fma_f64 v[16:17], -v[12:13], v[14:15], 0.5
	s_delay_alu instid0(VALU_DEP_1) | instskip(SKIP_1) | instid1(VALU_DEP_2)
	v_fmac_f64_e32 v[14:15], v[14:15], v[16:17]
	v_fmac_f64_e32 v[12:13], v[12:13], v[16:17]
	v_fma_f64 v[16:17], -v[14:15], v[14:15], v[8:9]
	s_delay_alu instid0(VALU_DEP_1) | instskip(NEXT) | instid1(VALU_DEP_1)
	v_fmac_f64_e32 v[14:15], v[16:17], v[12:13]
	v_fma_f64 v[16:17], -v[14:15], v[14:15], v[8:9]
	s_delay_alu instid0(VALU_DEP_1) | instskip(NEXT) | instid1(VALU_DEP_1)
	v_fmac_f64_e32 v[14:15], v[16:17], v[12:13]
	v_ldexp_f64 v[12:13], v[14:15], s3
	s_wait_loadcnt 0x0
	s_delay_alu instid0(VALU_DEP_1) | instskip(NEXT) | instid1(VALU_DEP_2)
	v_dual_add_f64 v[14:15], v[6:7], -v[10:11] :: v_dual_cndmask_b32 v8, v12, v8, vcc_lo
	v_cndmask_b32_e32 v9, v13, v9, vcc_lo
	s_delay_alu instid0(VALU_DEP_1) | instskip(NEXT) | instid1(VALU_DEP_1)
	v_add_f64_e32 v[16:17], v[8:9], v[8:9]
	v_cmp_ngt_f64_e64 s3, |v[14:15]|, |v[16:17]|
	s_and_b32 vcc_lo, exec_lo, s3
	s_cbranch_vccz .LBB9_128
; %bb.126:                              ;   in Loop: Header=BB9_101 Depth=2
	v_cmp_nlt_f64_e64 s3, |v[14:15]|, |v[16:17]|
	s_and_b32 vcc_lo, exec_lo, s3
	s_cbranch_vccz .LBB9_129
; %bb.127:                              ;   in Loop: Header=BB9_101 Depth=2
	v_mul_f64_e64 v[12:13], |v[16:17]|, s[20:21]
	s_cbranch_execz .LBB9_130
	s_branch .LBB9_131
.LBB9_128:                              ;   in Loop: Header=BB9_101 Depth=2
                                        ; implicit-def: $vgpr12_vgpr13
	s_branch .LBB9_132
.LBB9_129:                              ;   in Loop: Header=BB9_101 Depth=2
                                        ; implicit-def: $vgpr12_vgpr13
.LBB9_130:                              ;   in Loop: Header=BB9_101 Depth=2
	v_and_b32_e32 v13, 0x7fffffff, v15
	v_dual_mov_b32 v12, v14 :: v_dual_mov_b32 v18, v16
	v_and_b32_e32 v19, 0x7fffffff, v17
	s_delay_alu instid0(VALU_DEP_1) | instskip(SKIP_1) | instid1(VALU_DEP_2)
	v_div_scale_f64 v[20:21], null, v[18:19], v[18:19], v[12:13]
	v_div_scale_f64 v[12:13], vcc_lo, v[12:13], v[18:19], v[12:13]
	v_rcp_f64_e32 v[22:23], v[20:21]
	v_nop
	s_delay_alu instid0(TRANS32_DEP_1) | instskip(NEXT) | instid1(VALU_DEP_1)
	v_fma_f64 v[26:27], -v[20:21], v[22:23], 1.0
	v_fmac_f64_e32 v[22:23], v[22:23], v[26:27]
	s_delay_alu instid0(VALU_DEP_1) | instskip(NEXT) | instid1(VALU_DEP_1)
	v_fma_f64 v[26:27], -v[20:21], v[22:23], 1.0
	v_fmac_f64_e32 v[22:23], v[22:23], v[26:27]
	s_delay_alu instid0(VALU_DEP_1) | instskip(NEXT) | instid1(VALU_DEP_1)
	v_mul_f64_e32 v[18:19], v[12:13], v[22:23]
	v_fma_f64 v[12:13], -v[20:21], v[18:19], v[12:13]
	s_delay_alu instid0(VALU_DEP_1) | instskip(NEXT) | instid1(VALU_DEP_1)
	v_div_fmas_f64 v[12:13], v[12:13], v[22:23], v[18:19]
	v_div_fixup_f64 v[12:13], v[12:13], |v[16:17]|, |v[14:15]|
	s_delay_alu instid0(VALU_DEP_1) | instskip(NEXT) | instid1(VALU_DEP_1)
	v_fma_f64 v[12:13], v[12:13], v[12:13], 1.0
	v_cmp_gt_f64_e32 vcc_lo, 0x10000000, v[12:13]
	s_and_b32 s3, vcc_lo, exec_lo
	s_cselect_b32 s3, 0x100, 0
	s_delay_alu instid0(SALU_CYCLE_1) | instskip(SKIP_1) | instid1(VALU_DEP_1)
	v_ldexp_f64 v[12:13], v[12:13], s3
	s_cselect_b32 s3, 0xffffff80, 0
	v_rsq_f64_e32 v[18:19], v[12:13]
	v_cmp_class_f64_e64 vcc_lo, v[12:13], 0x260
	s_delay_alu instid0(TRANS32_DEP_1) | instskip(SKIP_1) | instid1(VALU_DEP_1)
	v_mul_f64_e32 v[20:21], v[12:13], v[18:19]
	v_mul_f64_e32 v[18:19], 0.5, v[18:19]
	v_fma_f64 v[22:23], -v[18:19], v[20:21], 0.5
	s_delay_alu instid0(VALU_DEP_1) | instskip(SKIP_1) | instid1(VALU_DEP_2)
	v_fmac_f64_e32 v[20:21], v[20:21], v[22:23]
	v_fmac_f64_e32 v[18:19], v[18:19], v[22:23]
	v_fma_f64 v[22:23], -v[20:21], v[20:21], v[12:13]
	s_delay_alu instid0(VALU_DEP_1) | instskip(NEXT) | instid1(VALU_DEP_1)
	v_fmac_f64_e32 v[20:21], v[22:23], v[18:19]
	v_fma_f64 v[22:23], -v[20:21], v[20:21], v[12:13]
	s_delay_alu instid0(VALU_DEP_1) | instskip(NEXT) | instid1(VALU_DEP_1)
	v_fmac_f64_e32 v[20:21], v[22:23], v[18:19]
	v_ldexp_f64 v[18:19], v[20:21], s3
	s_delay_alu instid0(VALU_DEP_1) | instskip(NEXT) | instid1(VALU_DEP_1)
	v_dual_cndmask_b32 v13, v19, v13 :: v_dual_cndmask_b32 v12, v18, v12
	v_mul_f64_e64 v[12:13], |v[16:17]|, v[12:13]
.LBB9_131:                              ;   in Loop: Header=BB9_101 Depth=2
	s_cbranch_execnz .LBB9_133
.LBB9_132:                              ;   in Loop: Header=BB9_101 Depth=2
	v_and_b32_e32 v13, 0x7fffffff, v17
	v_dual_mov_b32 v12, v16 :: v_dual_mov_b32 v18, v14
	v_and_b32_e32 v19, 0x7fffffff, v15
	s_delay_alu instid0(VALU_DEP_1) | instskip(SKIP_1) | instid1(VALU_DEP_2)
	v_div_scale_f64 v[20:21], null, v[18:19], v[18:19], v[12:13]
	v_div_scale_f64 v[12:13], vcc_lo, v[12:13], v[18:19], v[12:13]
	v_rcp_f64_e32 v[22:23], v[20:21]
	v_nop
	s_delay_alu instid0(TRANS32_DEP_1) | instskip(NEXT) | instid1(VALU_DEP_1)
	v_fma_f64 v[26:27], -v[20:21], v[22:23], 1.0
	v_fmac_f64_e32 v[22:23], v[22:23], v[26:27]
	s_delay_alu instid0(VALU_DEP_1) | instskip(NEXT) | instid1(VALU_DEP_1)
	v_fma_f64 v[26:27], -v[20:21], v[22:23], 1.0
	v_fmac_f64_e32 v[22:23], v[22:23], v[26:27]
	s_delay_alu instid0(VALU_DEP_1) | instskip(NEXT) | instid1(VALU_DEP_1)
	v_mul_f64_e32 v[18:19], v[12:13], v[22:23]
	v_fma_f64 v[12:13], -v[20:21], v[18:19], v[12:13]
	s_delay_alu instid0(VALU_DEP_1) | instskip(NEXT) | instid1(VALU_DEP_1)
	v_div_fmas_f64 v[12:13], v[12:13], v[22:23], v[18:19]
	v_div_fixup_f64 v[12:13], v[12:13], |v[14:15]|, |v[16:17]|
	s_delay_alu instid0(VALU_DEP_1) | instskip(NEXT) | instid1(VALU_DEP_1)
	v_fma_f64 v[12:13], v[12:13], v[12:13], 1.0
	v_cmp_gt_f64_e32 vcc_lo, 0x10000000, v[12:13]
	s_and_b32 s3, vcc_lo, exec_lo
	s_cselect_b32 s3, 0x100, 0
	s_delay_alu instid0(SALU_CYCLE_1) | instskip(SKIP_1) | instid1(VALU_DEP_1)
	v_ldexp_f64 v[12:13], v[12:13], s3
	s_cselect_b32 s3, 0xffffff80, 0
	v_rsq_f64_e32 v[16:17], v[12:13]
	v_cmp_class_f64_e64 vcc_lo, v[12:13], 0x260
	s_delay_alu instid0(TRANS32_DEP_1) | instskip(SKIP_1) | instid1(VALU_DEP_1)
	v_mul_f64_e32 v[18:19], v[12:13], v[16:17]
	v_mul_f64_e32 v[16:17], 0.5, v[16:17]
	v_fma_f64 v[20:21], -v[16:17], v[18:19], 0.5
	s_delay_alu instid0(VALU_DEP_1) | instskip(SKIP_1) | instid1(VALU_DEP_2)
	v_fmac_f64_e32 v[18:19], v[18:19], v[20:21]
	v_fmac_f64_e32 v[16:17], v[16:17], v[20:21]
	v_fma_f64 v[20:21], -v[18:19], v[18:19], v[12:13]
	s_delay_alu instid0(VALU_DEP_1) | instskip(NEXT) | instid1(VALU_DEP_1)
	v_fmac_f64_e32 v[18:19], v[20:21], v[16:17]
	v_fma_f64 v[20:21], -v[18:19], v[18:19], v[12:13]
	s_delay_alu instid0(VALU_DEP_1) | instskip(NEXT) | instid1(VALU_DEP_1)
	v_fmac_f64_e32 v[18:19], v[20:21], v[16:17]
	v_ldexp_f64 v[16:17], v[18:19], s3
	s_delay_alu instid0(VALU_DEP_1) | instskip(NEXT) | instid1(VALU_DEP_1)
	v_dual_cndmask_b32 v13, v17, v13 :: v_dual_cndmask_b32 v12, v16, v12
	v_mul_f64_e64 v[12:13], |v[14:15]|, v[12:13]
.LBB9_133:                              ;   in Loop: Header=BB9_101 Depth=2
	v_add_f64_e32 v[16:17], v[6:7], v[10:11]
	v_cmp_gt_f64_e64 vcc_lo, |v[6:7]|, |v[10:11]|
	s_delay_alu instid0(VALU_DEP_2)
	v_cmp_ngt_f64_e64 s3, 0, v[16:17]
	v_dual_cndmask_b32 v15, v7, v11 :: v_dual_cndmask_b32 v14, v6, v10
	v_dual_cndmask_b32 v7, v11, v7 :: v_dual_cndmask_b32 v6, v10, v6
	s_and_b32 vcc_lo, exec_lo, s3
	s_cbranch_vccz .LBB9_136
; %bb.134:                              ;   in Loop: Header=BB9_101 Depth=2
	v_cmp_nlt_f64_e32 vcc_lo, 0, v[16:17]
	s_cbranch_vccz .LBB9_137
; %bb.135:                              ;   in Loop: Header=BB9_101 Depth=2
	v_mul_f64_e32 v[10:11], 0.5, v[12:13]
	v_mul_f64_e32 v[18:19], -0.5, v[12:13]
	s_cbranch_execz .LBB9_138
	s_branch .LBB9_139
.LBB9_136:                              ;   in Loop: Header=BB9_101 Depth=2
                                        ; implicit-def: $vgpr18_vgpr19
                                        ; implicit-def: $vgpr10_vgpr11
	s_branch .LBB9_140
.LBB9_137:                              ;   in Loop: Header=BB9_101 Depth=2
                                        ; implicit-def: $vgpr18_vgpr19
                                        ; implicit-def: $vgpr10_vgpr11
.LBB9_138:                              ;   in Loop: Header=BB9_101 Depth=2
	v_add_f64_e32 v[10:11], v[16:17], v[12:13]
	s_delay_alu instid0(VALU_DEP_1) | instskip(NEXT) | instid1(VALU_DEP_1)
	v_mul_f64_e32 v[10:11], 0.5, v[10:11]
	v_div_scale_f64 v[18:19], null, v[10:11], v[10:11], v[6:7]
	v_div_scale_f64 v[20:21], null, v[10:11], v[10:11], v[8:9]
	v_div_scale_f64 v[32:33], vcc_lo, v[6:7], v[10:11], v[6:7]
	s_delay_alu instid0(VALU_DEP_3) | instskip(NEXT) | instid1(VALU_DEP_2)
	v_rcp_f64_e32 v[22:23], v[18:19]
	v_rcp_f64_e32 v[26:27], v[20:21]
	s_delay_alu instid0(TRANS32_DEP_2) | instskip(NEXT) | instid1(TRANS32_DEP_1)
	v_fma_f64 v[28:29], -v[18:19], v[22:23], 1.0
	v_fma_f64 v[30:31], -v[20:21], v[26:27], 1.0
	s_delay_alu instid0(VALU_DEP_2) | instskip(NEXT) | instid1(VALU_DEP_2)
	v_fmac_f64_e32 v[22:23], v[22:23], v[28:29]
	v_fmac_f64_e32 v[26:27], v[26:27], v[30:31]
	s_delay_alu instid0(VALU_DEP_2) | instskip(NEXT) | instid1(VALU_DEP_2)
	v_fma_f64 v[28:29], -v[18:19], v[22:23], 1.0
	v_fma_f64 v[30:31], -v[20:21], v[26:27], 1.0
	s_delay_alu instid0(VALU_DEP_2) | instskip(SKIP_1) | instid1(VALU_DEP_3)
	v_fmac_f64_e32 v[22:23], v[22:23], v[28:29]
	v_div_scale_f64 v[28:29], s3, v[8:9], v[10:11], v[8:9]
	v_fmac_f64_e32 v[26:27], v[26:27], v[30:31]
	s_delay_alu instid0(VALU_DEP_3) | instskip(NEXT) | instid1(VALU_DEP_2)
	v_mul_f64_e32 v[30:31], v[32:33], v[22:23]
	v_mul_f64_e32 v[34:35], v[28:29], v[26:27]
	s_delay_alu instid0(VALU_DEP_2) | instskip(NEXT) | instid1(VALU_DEP_2)
	v_fma_f64 v[18:19], -v[18:19], v[30:31], v[32:33]
	v_fma_f64 v[20:21], -v[20:21], v[34:35], v[28:29]
	s_delay_alu instid0(VALU_DEP_2) | instskip(SKIP_1) | instid1(VALU_DEP_2)
	v_div_fmas_f64 v[18:19], v[18:19], v[22:23], v[30:31]
	s_mov_b32 vcc_lo, s3
	v_div_fmas_f64 v[20:21], v[20:21], v[26:27], v[34:35]
	s_delay_alu instid0(VALU_DEP_2) | instskip(NEXT) | instid1(VALU_DEP_2)
	v_div_fixup_f64 v[18:19], v[18:19], v[10:11], v[6:7]
	v_div_fixup_f64 v[20:21], v[20:21], v[10:11], v[8:9]
	s_delay_alu instid0(VALU_DEP_1) | instskip(NEXT) | instid1(VALU_DEP_1)
	v_mul_f64_e32 v[20:21], v[8:9], v[20:21]
	v_fma_f64 v[18:19], v[14:15], v[18:19], -v[20:21]
.LBB9_139:                              ;   in Loop: Header=BB9_101 Depth=2
	s_cbranch_execnz .LBB9_141
.LBB9_140:                              ;   in Loop: Header=BB9_101 Depth=2
	v_add_f64_e64 v[10:11], v[16:17], -v[12:13]
	s_delay_alu instid0(VALU_DEP_1) | instskip(NEXT) | instid1(VALU_DEP_1)
	v_mul_f64_e32 v[10:11], 0.5, v[10:11]
	v_div_scale_f64 v[12:13], null, v[10:11], v[10:11], v[6:7]
	v_div_scale_f64 v[16:17], null, v[10:11], v[10:11], v[8:9]
	v_div_scale_f64 v[28:29], vcc_lo, v[6:7], v[10:11], v[6:7]
	s_delay_alu instid0(VALU_DEP_3) | instskip(NEXT) | instid1(VALU_DEP_2)
	v_rcp_f64_e32 v[18:19], v[12:13]
	v_rcp_f64_e32 v[20:21], v[16:17]
	s_delay_alu instid0(TRANS32_DEP_2) | instskip(NEXT) | instid1(TRANS32_DEP_1)
	v_fma_f64 v[22:23], -v[12:13], v[18:19], 1.0
	v_fma_f64 v[26:27], -v[16:17], v[20:21], 1.0
	s_delay_alu instid0(VALU_DEP_2) | instskip(NEXT) | instid1(VALU_DEP_2)
	v_fmac_f64_e32 v[18:19], v[18:19], v[22:23]
	v_fmac_f64_e32 v[20:21], v[20:21], v[26:27]
	s_delay_alu instid0(VALU_DEP_2) | instskip(NEXT) | instid1(VALU_DEP_2)
	v_fma_f64 v[22:23], -v[12:13], v[18:19], 1.0
	v_fma_f64 v[26:27], -v[16:17], v[20:21], 1.0
	s_delay_alu instid0(VALU_DEP_2) | instskip(SKIP_1) | instid1(VALU_DEP_3)
	v_fmac_f64_e32 v[18:19], v[18:19], v[22:23]
	v_div_scale_f64 v[22:23], s3, v[8:9], v[10:11], v[8:9]
	v_fmac_f64_e32 v[20:21], v[20:21], v[26:27]
	s_delay_alu instid0(VALU_DEP_3) | instskip(NEXT) | instid1(VALU_DEP_2)
	v_mul_f64_e32 v[26:27], v[28:29], v[18:19]
	v_mul_f64_e32 v[30:31], v[22:23], v[20:21]
	s_delay_alu instid0(VALU_DEP_2) | instskip(NEXT) | instid1(VALU_DEP_2)
	v_fma_f64 v[12:13], -v[12:13], v[26:27], v[28:29]
	v_fma_f64 v[16:17], -v[16:17], v[30:31], v[22:23]
	s_delay_alu instid0(VALU_DEP_2) | instskip(SKIP_1) | instid1(VALU_DEP_2)
	v_div_fmas_f64 v[12:13], v[12:13], v[18:19], v[26:27]
	s_mov_b32 vcc_lo, s3
	v_div_fmas_f64 v[16:17], v[16:17], v[20:21], v[30:31]
	s_delay_alu instid0(VALU_DEP_2) | instskip(NEXT) | instid1(VALU_DEP_2)
	v_div_fixup_f64 v[6:7], v[12:13], v[10:11], v[6:7]
	v_div_fixup_f64 v[16:17], v[16:17], v[10:11], v[8:9]
	s_delay_alu instid0(VALU_DEP_1) | instskip(NEXT) | instid1(VALU_DEP_1)
	v_mul_f64_e32 v[8:9], v[8:9], v[16:17]
	v_fma_f64 v[18:19], v[14:15], v[6:7], -v[8:9]
.LBB9_141:                              ;   in Loop: Header=BB9_101 Depth=2
	s_ashr_i32 s5, s4, 31
	global_store_b64 v24, v[10:11], s[42:43]
	s_lshl_b64 s[4:5], s[4:5], 3
	s_add_co_i32 s40, s40, -2
	s_wait_xcnt 0x0
	s_add_nc_u64 s[42:43], s[6:7], s[4:5]
	s_add_nc_u64 s[4:5], s[10:11], s[4:5]
	global_store_b64 v24, v[18:19], s[42:43]
	global_store_b64 v24, v[2:3], s[4:5]
	s_cbranch_execz .LBB9_100
	s_branch .LBB9_146
.LBB9_142:                              ;   in Loop: Header=BB9_101 Depth=2
	v_mov_b64_e32 v[14:15], v[18:19]
.LBB9_143:                              ;   in Loop: Header=BB9_101 Depth=2
	s_delay_alu instid0(VALU_DEP_1)
	v_mov_b64_e32 v[16:17], v[10:11]
.LBB9_144:                              ;   in Loop: Header=BB9_101 Depth=2
	s_delay_alu instid0(VALU_DEP_1) | instskip(NEXT) | instid1(VALU_DEP_3)
	v_mul_f64_e32 v[10:11], v[16:17], v[12:13]
	v_add_f64_e32 v[8:9], v[8:9], v[14:15]
	s_add_co_i32 s5, s58, 1
	s_mov_b32 s3, -1
	s_clause 0x1
	global_store_b64 v24, v[10:11], s[44:45] offset:-8
	global_store_b64 v24, v[8:9], s[42:43]
	s_and_b32 vcc_lo, exec_lo, s50
	s_cbranch_vccnz .LBB9_125
.LBB9_145:                              ;   in Loop: Header=BB9_101 Depth=2
	s_mov_b32 s58, s5
	s_and_b32 vcc_lo, exec_lo, s3
	s_cbranch_vccz .LBB9_100
.LBB9_146:                              ;   in Loop: Header=BB9_101 Depth=2
	s_cmp_lt_i32 s40, s31
	s_cselect_b32 s3, -1, 0
	s_cmp_ge_i32 s58, s56
	s_wait_xcnt 0x0
	s_cselect_b32 s4, -1, 0
	s_delay_alu instid0(SALU_CYCLE_1)
	s_or_b32 s41, s3, s4
	s_branch .LBB9_100
.LBB9_147:
	s_cmp_lt_i32 s33, 2
	s_cbranch_scc1 .LBB9_158
; %bb.148:
	s_load_b64 s[0:1], s[0:1], 0x28
	v_mov_b32_e32 v0, 0
	s_lshl_b64 s[2:3], s[16:17], 2
	s_wait_kmcnt 0x0
	s_add_nc_u64 s[0:1], s[0:1], s[2:3]
	s_mov_b32 s2, 1
	s_branch .LBB9_150
.LBB9_149:                              ;   in Loop: Header=BB9_150 Depth=1
	s_add_co_i32 s2, s2, 1
	s_wait_xcnt 0x0
	s_add_nc_u64 s[10:11], s[10:11], 8
	s_cmp_lg_u32 s33, s2
	s_cbranch_scc0 .LBB9_152
.LBB9_150:                              ; =>This Inner Loop Header: Depth=1
	global_load_b64 v[2:3], v0, s[10:11]
	s_wait_loadcnt 0x0
	v_cmp_eq_f64_e32 vcc_lo, 0, v[2:3]
	s_cbranch_vccnz .LBB9_149
; %bb.151:                              ;   in Loop: Header=BB9_150 Depth=1
	global_load_b32 v1, v0, s[0:1]
	s_wait_loadcnt 0x0
	v_add_nc_u32_e32 v1, 1, v1
	global_store_b32 v0, v1, s[0:1]
	s_branch .LBB9_149
.LBB9_152:
	v_mov_b32_e32 v4, 0
	s_add_nc_u64 s[0:1], s[6:7], 8
	s_mov_b32 s2, 1
	s_branch .LBB9_154
.LBB9_153:                              ;   in Loop: Header=BB9_154 Depth=1
	s_add_co_i32 s2, s2, 1
	s_add_nc_u64 s[0:1], s[0:1], 8
	s_cmp_lg_u32 s2, s33
	s_cbranch_scc0 .LBB9_158
.LBB9_154:                              ; =>This Loop Header: Depth=1
                                        ;     Child Loop BB9_155 Depth 2
	s_wait_xcnt 0x1
	v_mov_b32_e32 v0, s2
	s_ashr_i32 s3, s2, 31
	s_mov_b64 s[8:9], s[0:1]
	s_wait_xcnt 0x0
	s_lshl_b64 s[4:5], s[2:3], 3
	s_add_co_i32 s3, s2, -1
	global_load_b64 v[0:1], v0, s[6:7] offset:-8 scale_offset
	s_add_nc_u64 s[4:5], s[6:7], s[4:5]
	s_mov_b32 s11, s2
	s_mov_b32 s10, s3
	s_wait_loadcnt 0x0
	v_mov_b64_e32 v[2:3], v[0:1]
.LBB9_155:                              ;   Parent Loop BB9_154 Depth=1
                                        ; =>  This Inner Loop Header: Depth=2
	global_load_b64 v[6:7], v4, s[8:9]
	s_wait_xcnt 0x0
	s_add_nc_u64 s[8:9], s[8:9], 8
	s_wait_loadcnt 0x0
	v_cmp_lt_f64_e32 vcc_lo, v[6:7], v[2:3]
	v_dual_cndmask_b32 v3, v3, v7 :: v_dual_cndmask_b32 v2, v2, v6
	s_and_b32 s12, vcc_lo, exec_lo
	s_cselect_b32 s10, s11, s10
	s_add_co_i32 s11, s11, 1
	s_delay_alu instid0(SALU_CYCLE_1)
	s_cmp_eq_u32 s33, s11
	s_cbranch_scc0 .LBB9_155
; %bb.156:                              ;   in Loop: Header=BB9_154 Depth=1
	s_cmp_lg_u32 s10, s3
	s_cbranch_scc0 .LBB9_153
; %bb.157:                              ;   in Loop: Header=BB9_154 Depth=1
	v_mov_b32_e32 v5, s10
	s_clause 0x1
	global_store_b64 v5, v[0:1], s[6:7] scale_offset
	global_store_b64 v4, v[2:3], s[4:5] offset:-8
	s_branch .LBB9_153
.LBB9_158:
	s_endpgm
	.section	.rodata,"a",@progbits
	.p2align	6, 0x0
	.amdhsa_kernel _ZN9rocsolver6v33100L12sterf_kernelIdEEviPT_lS3_lPiS4_iS2_S2_S2_
		.amdhsa_group_segment_fixed_size 0
		.amdhsa_private_segment_fixed_size 0
		.amdhsa_kernarg_size 88
		.amdhsa_user_sgpr_count 2
		.amdhsa_user_sgpr_dispatch_ptr 0
		.amdhsa_user_sgpr_queue_ptr 0
		.amdhsa_user_sgpr_kernarg_segment_ptr 1
		.amdhsa_user_sgpr_dispatch_id 0
		.amdhsa_user_sgpr_kernarg_preload_length 0
		.amdhsa_user_sgpr_kernarg_preload_offset 0
		.amdhsa_user_sgpr_private_segment_size 0
		.amdhsa_wavefront_size32 1
		.amdhsa_uses_dynamic_stack 0
		.amdhsa_enable_private_segment 0
		.amdhsa_system_sgpr_workgroup_id_x 1
		.amdhsa_system_sgpr_workgroup_id_y 0
		.amdhsa_system_sgpr_workgroup_id_z 0
		.amdhsa_system_sgpr_workgroup_info 0
		.amdhsa_system_vgpr_workitem_id 0
		.amdhsa_next_free_vgpr 40
		.amdhsa_next_free_sgpr 60
		.amdhsa_named_barrier_count 0
		.amdhsa_reserve_vcc 1
		.amdhsa_float_round_mode_32 0
		.amdhsa_float_round_mode_16_64 0
		.amdhsa_float_denorm_mode_32 3
		.amdhsa_float_denorm_mode_16_64 3
		.amdhsa_fp16_overflow 0
		.amdhsa_memory_ordered 1
		.amdhsa_forward_progress 1
		.amdhsa_inst_pref_size 75
		.amdhsa_round_robin_scheduling 0
		.amdhsa_exception_fp_ieee_invalid_op 0
		.amdhsa_exception_fp_denorm_src 0
		.amdhsa_exception_fp_ieee_div_zero 0
		.amdhsa_exception_fp_ieee_overflow 0
		.amdhsa_exception_fp_ieee_underflow 0
		.amdhsa_exception_fp_ieee_inexact 0
		.amdhsa_exception_int_div_zero 0
	.end_amdhsa_kernel
	.section	.text._ZN9rocsolver6v33100L12sterf_kernelIdEEviPT_lS3_lPiS4_iS2_S2_S2_,"axG",@progbits,_ZN9rocsolver6v33100L12sterf_kernelIdEEviPT_lS3_lPiS4_iS2_S2_S2_,comdat
.Lfunc_end9:
	.size	_ZN9rocsolver6v33100L12sterf_kernelIdEEviPT_lS3_lPiS4_iS2_S2_S2_, .Lfunc_end9-_ZN9rocsolver6v33100L12sterf_kernelIdEEviPT_lS3_lPiS4_iS2_S2_S2_
                                        ; -- End function
	.set _ZN9rocsolver6v33100L12sterf_kernelIdEEviPT_lS3_lPiS4_iS2_S2_S2_.num_vgpr, 40
	.set _ZN9rocsolver6v33100L12sterf_kernelIdEEviPT_lS3_lPiS4_iS2_S2_S2_.num_agpr, 0
	.set _ZN9rocsolver6v33100L12sterf_kernelIdEEviPT_lS3_lPiS4_iS2_S2_S2_.numbered_sgpr, 60
	.set _ZN9rocsolver6v33100L12sterf_kernelIdEEviPT_lS3_lPiS4_iS2_S2_S2_.num_named_barrier, 0
	.set _ZN9rocsolver6v33100L12sterf_kernelIdEEviPT_lS3_lPiS4_iS2_S2_S2_.private_seg_size, 0
	.set _ZN9rocsolver6v33100L12sterf_kernelIdEEviPT_lS3_lPiS4_iS2_S2_S2_.uses_vcc, 1
	.set _ZN9rocsolver6v33100L12sterf_kernelIdEEviPT_lS3_lPiS4_iS2_S2_S2_.uses_flat_scratch, 0
	.set _ZN9rocsolver6v33100L12sterf_kernelIdEEviPT_lS3_lPiS4_iS2_S2_S2_.has_dyn_sized_stack, 0
	.set _ZN9rocsolver6v33100L12sterf_kernelIdEEviPT_lS3_lPiS4_iS2_S2_S2_.has_recursion, 0
	.set _ZN9rocsolver6v33100L12sterf_kernelIdEEviPT_lS3_lPiS4_iS2_S2_S2_.has_indirect_call, 0
	.section	.AMDGPU.csdata,"",@progbits
; Kernel info:
; codeLenInByte = 9484
; TotalNumSgprs: 62
; NumVgprs: 40
; ScratchSize: 0
; MemoryBound: 0
; FloatMode: 240
; IeeeMode: 1
; LDSByteSize: 0 bytes/workgroup (compile time only)
; SGPRBlocks: 0
; VGPRBlocks: 2
; NumSGPRsForWavesPerEU: 62
; NumVGPRsForWavesPerEU: 40
; NamedBarCnt: 0
; Occupancy: 16
; WaveLimiterHint : 0
; COMPUTE_PGM_RSRC2:SCRATCH_EN: 0
; COMPUTE_PGM_RSRC2:USER_SGPR: 2
; COMPUTE_PGM_RSRC2:TRAP_HANDLER: 0
; COMPUTE_PGM_RSRC2:TGID_X_EN: 1
; COMPUTE_PGM_RSRC2:TGID_Y_EN: 0
; COMPUTE_PGM_RSRC2:TGID_Z_EN: 0
; COMPUTE_PGM_RSRC2:TIDIG_COMP_CNT: 0
	.section	.text._ZN9rocsolver6v33100L11lasr_kernelIddPdiEEv13rocblas_side_14rocblas_pivot_15rocblas_direct_T2_S6_PT0_lS8_lT1_lS6_lS6_,"axG",@progbits,_ZN9rocsolver6v33100L11lasr_kernelIddPdiEEv13rocblas_side_14rocblas_pivot_15rocblas_direct_T2_S6_PT0_lS8_lT1_lS6_lS6_,comdat
	.globl	_ZN9rocsolver6v33100L11lasr_kernelIddPdiEEv13rocblas_side_14rocblas_pivot_15rocblas_direct_T2_S6_PT0_lS8_lT1_lS6_lS6_ ; -- Begin function _ZN9rocsolver6v33100L11lasr_kernelIddPdiEEv13rocblas_side_14rocblas_pivot_15rocblas_direct_T2_S6_PT0_lS8_lT1_lS6_lS6_
	.p2align	8
	.type	_ZN9rocsolver6v33100L11lasr_kernelIddPdiEEv13rocblas_side_14rocblas_pivot_15rocblas_direct_T2_S6_PT0_lS8_lT1_lS6_lS6_,@function
_ZN9rocsolver6v33100L11lasr_kernelIddPdiEEv13rocblas_side_14rocblas_pivot_15rocblas_direct_T2_S6_PT0_lS8_lT1_lS6_lS6_: ; @_ZN9rocsolver6v33100L11lasr_kernelIddPdiEEv13rocblas_side_14rocblas_pivot_15rocblas_direct_T2_S6_PT0_lS8_lT1_lS6_lS6_
; %bb.0:
	s_load_b32 s33, s[0:1], 0x58
	s_bfe_u32 s2, ttmp6, 0x40014
	s_lshr_b32 s3, ttmp7, 16
	s_add_co_i32 s2, s2, 1
	s_bfe_u32 s5, ttmp6, 0x40008
	s_mul_i32 s2, s3, s2
	s_getreg_b32 s4, hwreg(HW_REG_IB_STS2, 6, 4)
	s_add_co_i32 s5, s5, s2
	s_cmp_eq_u32 s4, 0
	s_cselect_b32 s2, s3, s5
	s_mov_b32 s3, 0
	s_wait_kmcnt 0x0
	s_cmp_ge_u32 s2, s33
	s_cbranch_scc1 .LBB10_108
; %bb.1:
	s_clause 0x3
	s_load_b32 s20, s[0:1], 0x48
	s_load_b64 s[22:23], s[0:1], 0x68
	s_load_b128 s[16:19], s[0:1], 0x38
	s_load_b128 s[12:15], s[0:1], 0x0
	s_bfe_u32 s5, ttmp6, 0x4000c
	s_and_b32 s6, ttmp6, 15
	s_add_co_i32 s5, s5, 1
	s_load_b32 s24, s[0:1], 0x60
	s_mul_i32 s5, ttmp9, s5
	s_mov_b32 s37, s3
	s_add_co_i32 s6, s6, s5
	s_mov_b32 s49, s3
	s_wait_kmcnt 0x0
	s_ashr_i32 s21, s20, 31
	s_and_b32 s25, s23, 0xffff
	s_cmp_eq_u32 s4, 0
	s_load_b32 s23, s[0:1], 0x10
	s_cselect_b32 s26, ttmp9, s6
	s_lshl_b64 s[46:47], s[18:19], 3
	v_mad_u32 v0, s26, s25, v0
	s_cmp_eq_u32 s12, 0x8d
	s_load_b64 s[18:19], s[0:1], 0x50
	s_cselect_b32 s27, -1, 0
	s_cmp_eq_u32 s12, 0x8e
	s_load_b256 s[4:11], s[0:1], 0x18
	s_cselect_b32 s28, -1, 0
	s_cmp_eq_u32 s13, 0x119
	s_mul_i32 s12, s24, s25
	s_cselect_b32 s29, -1, 0
	s_cmp_eq_u32 s13, 0x11b
	v_ashrrev_i32_e32 v1, 31, v0
	s_wait_xcnt 0x0
	s_cselect_b32 s0, -1, 0
	s_cmp_eq_u32 s13, 0x11a
	s_add_nc_u64 s[24:25], s[16:17], s[46:47]
	s_cselect_b32 s1, -1, 0
	v_mul_u64_e32 v[8:9], s[20:21], v[0:1]
	s_cmp_eq_u32 s14, 0xab
	v_lshlrev_b64_e32 v[10:11], 3, v[0:1]
	s_cselect_b32 s13, -1, 0
	s_cmp_eq_u32 s14, 0xac
	v_mov_b32_e32 v1, 0
	s_cselect_b32 s30, -1, 0
	s_and_b32 s26, s27, s1
	s_and_b32 s14, s27, s29
	;; [unrolled: 1-line block ×6, first 2 shown]
	s_xor_b32 s78, s26, -1
	s_and_b32 s26, s28, s29
	s_and_b32 s1, s28, s1
	;; [unrolled: 1-line block ×3, first 2 shown]
	v_cmp_gt_i32_e64 s0, s15, v0
	s_and_b32 s34, s14, s30
	s_xor_b32 s14, s31, -1
	s_and_b32 s31, s27, s13
	s_and_b32 s27, s27, s30
	;; [unrolled: 1-line block ×3, first 2 shown]
	s_xor_b32 s80, s27, -1
	s_and_b32 s26, s26, s30
	s_and_b32 s27, s1, s13
	;; [unrolled: 1-line block ×3, first 2 shown]
	s_xor_b32 s82, s26, -1
	s_and_b32 s13, s28, s13
	s_xor_b32 s84, s1, -1
	s_wait_kmcnt 0x0
	s_add_co_i32 s26, s23, -1
	s_and_b32 s1, s30, s0
	s_xor_b32 s76, s34, -1
	s_xor_b32 s77, s35, -1
	;; [unrolled: 1-line block ×6, first 2 shown]
	s_ashr_i32 s27, s26, 31
	s_and_b32 s86, s28, s1
	s_add_co_i32 s36, s23, -2
	s_cmp_gt_i32 s23, 1
	s_mul_u64 s[28:29], s[20:21], s[26:27]
	s_mov_b32 s27, s3
	s_cselect_b32 s87, -1, 0
	s_ashr_i32 s31, s15, 31
	s_add_co_i32 s48, s15, -2
	s_cmp_gt_i32 s15, 1
	s_mul_u64 s[50:51], s[20:21], s[26:27]
	s_cselect_b32 s88, -1, 0
	s_lshl_b64 s[50:51], s[50:51], 3
	s_lshl_b64 s[42:43], s[20:21], 3
	s_add_nc_u64 s[50:51], s[50:51], s[46:47]
	s_lshl_b64 s[38:39], s[36:37], 3
	s_mul_u64 s[36:37], s[20:21], s[36:37]
	s_add_nc_u64 s[50:51], s[16:17], s[50:51]
	s_add_nc_u64 s[52:53], s[46:47], s[42:43]
	s_lshl_b64 s[36:37], s[36:37], 3
	v_add_nc_u64_e32 v[6:7], s[50:51], v[10:11]
	s_add_nc_u64 s[50:51], s[16:17], s[52:53]
	v_lshl_add_u64 v[14:15], v[8:9], 3, s[46:47]
	s_add_nc_u64 s[40:41], s[36:37], s[46:47]
	v_add_nc_u64_e32 v[8:9], s[50:51], v[10:11]
	s_lshl_b64 s[50:51], s[48:49], 3
	s_add_nc_u64 s[34:35], s[4:5], s[38:39]
	s_add_nc_u64 s[36:37], s[8:9], s[38:39]
	;; [unrolled: 1-line block ×4, first 2 shown]
	v_add_nc_u64_e32 v[2:3], s[38:39], v[10:11]
	v_add_nc_u64_e32 v[4:5], s[24:25], v[10:11]
	;; [unrolled: 1-line block ×4, first 2 shown]
	s_add_co_i32 s46, s15, -1
	s_mov_b32 s47, s3
	s_ashr_i32 s13, s12, 31
	s_lshl_b64 s[52:53], s[46:47], 3
	v_cmp_gt_i32_e64 s1, s23, v0
	s_add_nc_u64 s[16:17], s[16:17], s[52:53]
	v_add_nc_u64_e32 v[16:17], 8, v[10:11]
	v_add_nc_u64_e32 v[14:15], s[16:17], v[14:15]
	;; [unrolled: 1-line block ×3, first 2 shown]
	s_mul_u64 s[52:53], s[20:21], s[12:13]
	s_mov_b32 s30, s15
	s_lshl_b64 s[6:7], s[6:7], 3
	s_lshl_b64 s[10:11], s[10:11], 3
	;; [unrolled: 1-line block ×4, first 2 shown]
	s_sub_nc_u64 s[44:45], 0, s[42:43]
	s_add_co_i32 s27, s23, 1
	s_add_nc_u64 s[48:49], s[4:5], s[50:51]
	s_add_nc_u64 s[16:17], s[8:9], s[50:51]
	s_lshl_b64 s[50:51], s[52:53], 3
	s_add_co_i32 s13, s15, 1
	s_branch .LBB10_4
.LBB10_2:                               ;   in Loop: Header=BB10_4 Depth=1
	s_or_b32 exec_lo, exec_lo, s47
.LBB10_3:                               ;   in Loop: Header=BB10_4 Depth=1
	s_add_co_i32 s2, s2, s22
	s_delay_alu instid0(SALU_CYCLE_1)
	s_cmp_ge_u32 s2, s33
	s_cbranch_scc1 .LBB10_108
.LBB10_4:                               ; =>This Loop Header: Depth=1
                                        ;     Child Loop BB10_19 Depth 2
                                        ;       Child Loop BB10_20 Depth 3
                                        ;     Child Loop BB10_26 Depth 2
                                        ;       Child Loop BB10_27 Depth 3
	;; [unrolled: 2-line block ×12, first 2 shown]
	s_mul_u64 s[62:63], s[38:39], s[2:3]
	s_mul_u64 s[54:55], s[18:19], s[2:3]
	v_add_nc_u64_e32 v[20:21], s[62:63], v[16:17]
	s_mul_u64 s[64:65], s[6:7], s[2:3]
	s_mul_u64 s[66:67], s[10:11], s[2:3]
	s_lshl_b64 s[56:57], s[54:55], 3
	s_add_nc_u64 s[52:53], s[4:5], s[64:65]
	s_add_nc_u64 s[54:55], s[8:9], s[66:67]
	;; [unrolled: 1-line block ×3, first 2 shown]
	s_and_b32 vcc_lo, exec_lo, s14
	s_mov_b32 s47, -1
	s_cbranch_vccnz .LBB10_6
; %bb.5:                                ;   in Loop: Header=BB10_4 Depth=1
	s_and_not1_b32 vcc_lo, exec_lo, s47
	s_cbranch_vccnz .LBB10_3
	s_branch .LBB10_103
.LBB10_6:                               ;   in Loop: Header=BB10_4 Depth=1
	s_add_nc_u64 s[58:59], s[48:49], s[64:65]
	s_add_nc_u64 s[60:61], s[16:17], s[66:67]
	s_and_b32 vcc_lo, exec_lo, s76
	s_cbranch_vccz .LBB10_95
; %bb.7:                                ;   in Loop: Header=BB10_4 Depth=1
	s_and_b32 vcc_lo, exec_lo, s77
	s_cbranch_vccz .LBB10_87
; %bb.8:                                ;   in Loop: Header=BB10_4 Depth=1
	;; [unrolled: 3-line block ×3, first 2 shown]
	s_and_b32 vcc_lo, exec_lo, s79
	s_cbranch_vccz .LBB10_71
; %bb.10:                               ;   in Loop: Header=BB10_4 Depth=1
	s_and_b32 vcc_lo, exec_lo, s80
	s_cbranch_vccz .LBB10_63
; %bb.11:                               ;   in Loop: Header=BB10_4 Depth=1
	v_add_nc_u64_e32 v[22:23], s[62:63], v[4:5]
	s_and_b32 vcc_lo, exec_lo, s81
	s_cbranch_vccz .LBB10_55
; %bb.12:                               ;   in Loop: Header=BB10_4 Depth=1
	v_add_nc_u64_e32 v[24:25], s[62:63], v[6:7]
	v_add_nc_u64_e32 v[26:27], s[62:63], v[2:3]
	s_add_nc_u64 s[64:65], s[34:35], s[64:65]
	s_add_nc_u64 s[66:67], s[36:37], s[66:67]
	s_and_b32 vcc_lo, exec_lo, s82
	s_cbranch_vccz .LBB10_46
; %bb.13:                               ;   in Loop: Header=BB10_4 Depth=1
	s_and_b32 vcc_lo, exec_lo, s83
	s_cbranch_vccz .LBB10_38
; %bb.14:                               ;   in Loop: Header=BB10_4 Depth=1
	;; [unrolled: 3-line block ×4, first 2 shown]
	s_and_saveexec_b32 s47, s86
	s_cbranch_execz .LBB10_21
; %bb.17:                               ;   in Loop: Header=BB10_4 Depth=1
	v_mov_b64_e32 v[28:29], v[26:27]
	v_mov_b32_e32 v30, v0
	s_lshl_b64 s[68:69], s[28:29], 3
	s_mov_b32 s74, 0
	s_add_nc_u64 s[68:69], s[56:57], s[68:69]
	s_branch .LBB10_19
.LBB10_18:                              ;   in Loop: Header=BB10_19 Depth=2
	v_ashrrev_i32_e32 v31, 31, v30
	v_add_nc_u64_e32 v[28:29], s[40:41], v[28:29]
	s_delay_alu instid0(VALU_DEP_2)
	v_lshl_add_u64 v[34:35], v[30:31], 3, s[68:69]
	s_wait_xcnt 0x0
	v_add_nc_u32_e32 v30, s12, v30
	s_wait_loadcnt 0x0
	global_store_b64 v[34:35], v[32:33], off
	v_cmp_le_i32_e32 vcc_lo, s15, v30
	s_or_b32 s74, vcc_lo, s74
	s_wait_xcnt 0x0
	s_and_not1_b32 exec_lo, exec_lo, s74
	s_cbranch_execz .LBB10_21
.LBB10_19:                              ;   Parent Loop BB10_4 Depth=1
                                        ; =>  This Loop Header: Depth=2
                                        ;       Child Loop BB10_20 Depth 3
	global_load_b64 v[32:33], v30, s[68:69] scale_offset
	v_mov_b64_e32 v[34:35], v[28:29]
	s_and_not1_b32 vcc_lo, exec_lo, s87
	s_mov_b64 s[70:71], s[66:67]
	s_mov_b64 s[72:73], s[64:65]
	s_mov_b32 s75, s26
	s_cbranch_vccnz .LBB10_18
.LBB10_20:                              ;   Parent Loop BB10_4 Depth=1
                                        ;     Parent Loop BB10_19 Depth=2
                                        ; =>    This Inner Loop Header: Depth=3
	global_load_b64 v[36:37], v[34:35], off
	s_clause 0x1
	global_load_b64 v[38:39], v1, s[72:73]
	global_load_b64 v[40:41], v1, s[70:71]
	s_add_co_i32 s75, s75, -1
	s_wait_xcnt 0x1
	s_add_nc_u64 s[72:73], s[72:73], -8
	s_cmp_eq_u32 s75, 0
	s_wait_xcnt 0x0
	s_add_nc_u64 s[70:71], s[70:71], -8
	s_wait_loadcnt 0x1
	v_mul_f64_e32 v[42:43], v[38:39], v[36:37]
	s_wait_loadcnt 0x0
	v_mul_f64_e32 v[36:37], v[40:41], v[36:37]
	s_delay_alu instid0(VALU_DEP_2) | instskip(NEXT) | instid1(VALU_DEP_2)
	v_fmac_f64_e32 v[42:43], v[32:33], v[40:41]
	v_fma_f64 v[32:33], v[32:33], v[38:39], -v[36:37]
	global_store_b64 v[34:35], v[42:43], off
	s_wait_xcnt 0x0
	v_add_nc_u64_e32 v[34:35], s[44:45], v[34:35]
	s_cbranch_scc0 .LBB10_20
	s_branch .LBB10_18
.LBB10_21:                              ;   in Loop: Header=BB10_4 Depth=1
	s_or_b32 exec_lo, exec_lo, s47
	s_mov_b32 s47, 0
.LBB10_22:                              ;   in Loop: Header=BB10_4 Depth=1
	s_delay_alu instid0(SALU_CYCLE_1)
	s_and_not1_b32 vcc_lo, exec_lo, s47
	s_cbranch_vccnz .LBB10_29
; %bb.23:                               ;   in Loop: Header=BB10_4 Depth=1
	s_and_saveexec_b32 s47, s0
	s_cbranch_execz .LBB10_28
; %bb.24:                               ;   in Loop: Header=BB10_4 Depth=1
	v_mov_b64_e32 v[28:29], v[22:23]
	v_mov_b32_e32 v30, v0
	s_lshl_b64 s[68:69], s[28:29], 3
	s_mov_b32 s74, 0
	s_add_nc_u64 s[68:69], s[56:57], s[68:69]
	s_branch .LBB10_26
.LBB10_25:                              ;   in Loop: Header=BB10_26 Depth=2
	v_ashrrev_i32_e32 v31, 31, v30
	v_add_nc_u64_e32 v[28:29], s[40:41], v[28:29]
	s_delay_alu instid0(VALU_DEP_2)
	v_lshl_add_u64 v[34:35], v[30:31], 3, s[68:69]
	s_wait_xcnt 0x0
	v_add_nc_u32_e32 v30, s12, v30
	s_wait_loadcnt 0x0
	global_store_b64 v[34:35], v[32:33], off
	v_cmp_le_i32_e32 vcc_lo, s15, v30
	s_or_b32 s74, vcc_lo, s74
	s_wait_xcnt 0x0
	s_and_not1_b32 exec_lo, exec_lo, s74
	s_cbranch_execz .LBB10_28
.LBB10_26:                              ;   Parent Loop BB10_4 Depth=1
                                        ; =>  This Loop Header: Depth=2
                                        ;       Child Loop BB10_27 Depth 3
	global_load_b64 v[32:33], v30, s[68:69] scale_offset
	v_mov_b64_e32 v[34:35], v[28:29]
	s_and_not1_b32 vcc_lo, exec_lo, s87
	s_mov_b64 s[70:71], s[54:55]
	s_mov_b64 s[72:73], s[52:53]
	s_mov_b32 s75, s26
	s_cbranch_vccnz .LBB10_25
.LBB10_27:                              ;   Parent Loop BB10_4 Depth=1
                                        ;     Parent Loop BB10_26 Depth=2
                                        ; =>    This Inner Loop Header: Depth=3
	global_load_b64 v[36:37], v[34:35], off
	s_clause 0x1
	global_load_b64 v[38:39], v1, s[72:73]
	global_load_b64 v[40:41], v1, s[70:71]
	s_add_co_i32 s75, s75, -1
	s_wait_xcnt 0x1
	s_add_nc_u64 s[72:73], s[72:73], 8
	s_cmp_eq_u32 s75, 0
	s_wait_xcnt 0x0
	s_add_nc_u64 s[70:71], s[70:71], 8
	s_wait_loadcnt 0x1
	v_mul_f64_e32 v[42:43], v[38:39], v[36:37]
	s_wait_loadcnt 0x0
	v_mul_f64_e32 v[36:37], v[40:41], v[36:37]
	s_delay_alu instid0(VALU_DEP_2) | instskip(NEXT) | instid1(VALU_DEP_2)
	v_fmac_f64_e32 v[42:43], v[32:33], v[40:41]
	v_fma_f64 v[32:33], v[32:33], v[38:39], -v[36:37]
	global_store_b64 v[34:35], v[42:43], off
	s_wait_xcnt 0x0
	v_add_nc_u64_e32 v[34:35], s[42:43], v[34:35]
	s_cbranch_scc0 .LBB10_27
	s_branch .LBB10_25
.LBB10_28:                              ;   in Loop: Header=BB10_4 Depth=1
	s_or_b32 exec_lo, exec_lo, s47
.LBB10_29:                              ;   in Loop: Header=BB10_4 Depth=1
	s_mov_b32 s47, 0
.LBB10_30:                              ;   in Loop: Header=BB10_4 Depth=1
	s_delay_alu instid0(SALU_CYCLE_1)
	s_and_not1_b32 vcc_lo, exec_lo, s47
	s_cbranch_vccnz .LBB10_37
; %bb.31:                               ;   in Loop: Header=BB10_4 Depth=1
	s_and_saveexec_b32 s47, s0
	s_cbranch_execz .LBB10_36
; %bb.32:                               ;   in Loop: Header=BB10_4 Depth=1
	v_mov_b64_e32 v[28:29], v[24:25]
	v_mov_b32_e32 v30, v0
	s_mov_b32 s72, 0
	s_branch .LBB10_34
.LBB10_33:                              ;   in Loop: Header=BB10_34 Depth=2
	v_ashrrev_i32_e32 v31, 31, v30
	v_add_nc_u64_e32 v[28:29], s[40:41], v[28:29]
	s_delay_alu instid0(VALU_DEP_2)
	v_lshl_add_u64 v[34:35], v[30:31], 3, s[56:57]
	s_wait_xcnt 0x0
	v_add_nc_u32_e32 v30, s12, v30
	s_wait_loadcnt 0x0
	global_store_b64 v[34:35], v[32:33], off
	v_cmp_le_i32_e32 vcc_lo, s15, v30
	s_or_b32 s72, vcc_lo, s72
	s_wait_xcnt 0x0
	s_and_not1_b32 exec_lo, exec_lo, s72
	s_cbranch_execz .LBB10_36
.LBB10_34:                              ;   Parent Loop BB10_4 Depth=1
                                        ; =>  This Loop Header: Depth=2
                                        ;       Child Loop BB10_35 Depth 3
	global_load_b64 v[32:33], v30, s[56:57] scale_offset
	v_mov_b64_e32 v[34:35], v[28:29]
	s_and_not1_b32 vcc_lo, exec_lo, s87
	s_mov_b64 s[68:69], s[66:67]
	s_mov_b64 s[70:71], s[64:65]
	s_mov_b32 s73, s27
	s_cbranch_vccnz .LBB10_33
.LBB10_35:                              ;   Parent Loop BB10_4 Depth=1
                                        ;     Parent Loop BB10_34 Depth=2
                                        ; =>    This Inner Loop Header: Depth=3
	s_clause 0x1
	global_load_b64 v[36:37], v1, s[68:69]
	global_load_b64 v[38:39], v1, s[70:71]
	global_load_b64 v[40:41], v[34:35], off
	s_wait_loadcnt 0x3
	v_mov_b64_e32 v[42:43], v[32:33]
	s_add_co_i32 s73, s73, -1
	s_wait_xcnt 0x1
	s_add_nc_u64 s[70:71], s[70:71], -8
	s_cmp_lt_u32 s73, 3
	s_add_nc_u64 s[68:69], s[68:69], -8
	s_wait_loadcnt 0x2
	v_mul_f64_e32 v[44:45], v[42:43], v[36:37]
	s_wait_loadcnt 0x0
	v_mul_f64_e32 v[32:33], v[36:37], v[40:41]
	s_delay_alu instid0(VALU_DEP_2) | instskip(NEXT) | instid1(VALU_DEP_2)
	v_fma_f64 v[36:37], v[38:39], v[40:41], -v[44:45]
	v_fmac_f64_e32 v[32:33], v[42:43], v[38:39]
	global_store_b64 v[34:35], v[36:37], off
	s_wait_xcnt 0x0
	v_add_nc_u64_e32 v[34:35], s[44:45], v[34:35]
	s_cbranch_scc0 .LBB10_35
	s_branch .LBB10_33
.LBB10_36:                              ;   in Loop: Header=BB10_4 Depth=1
	s_or_b32 exec_lo, exec_lo, s47
.LBB10_37:                              ;   in Loop: Header=BB10_4 Depth=1
	s_mov_b32 s47, 0
.LBB10_38:                              ;   in Loop: Header=BB10_4 Depth=1
	s_delay_alu instid0(SALU_CYCLE_1)
	s_and_not1_b32 vcc_lo, exec_lo, s47
	s_cbranch_vccnz .LBB10_45
; %bb.39:                               ;   in Loop: Header=BB10_4 Depth=1
	s_and_saveexec_b32 s47, s0
	s_cbranch_execz .LBB10_44
; %bb.40:                               ;   in Loop: Header=BB10_4 Depth=1
	v_add_nc_u64_e32 v[28:29], s[62:63], v[8:9]
	v_mov_b32_e32 v30, v0
	s_mov_b32 s72, 0
	s_branch .LBB10_42
.LBB10_41:                              ;   in Loop: Header=BB10_42 Depth=2
	v_ashrrev_i32_e32 v31, 31, v30
	v_add_nc_u64_e32 v[28:29], s[40:41], v[28:29]
	s_delay_alu instid0(VALU_DEP_2)
	v_lshl_add_u64 v[34:35], v[30:31], 3, s[56:57]
	s_wait_xcnt 0x0
	v_add_nc_u32_e32 v30, s12, v30
	s_wait_loadcnt 0x0
	global_store_b64 v[34:35], v[32:33], off
	v_cmp_le_i32_e32 vcc_lo, s15, v30
	s_or_b32 s72, vcc_lo, s72
	s_wait_xcnt 0x0
	s_and_not1_b32 exec_lo, exec_lo, s72
	s_cbranch_execz .LBB10_44
.LBB10_42:                              ;   Parent Loop BB10_4 Depth=1
                                        ; =>  This Loop Header: Depth=2
                                        ;       Child Loop BB10_43 Depth 3
	global_load_b64 v[32:33], v30, s[56:57] scale_offset
	v_mov_b64_e32 v[34:35], v[28:29]
	s_and_not1_b32 vcc_lo, exec_lo, s87
	s_mov_b32 s73, s26
	s_mov_b64 s[68:69], s[52:53]
	s_mov_b64 s[70:71], s[54:55]
	s_cbranch_vccnz .LBB10_41
.LBB10_43:                              ;   Parent Loop BB10_4 Depth=1
                                        ;     Parent Loop BB10_42 Depth=2
                                        ; =>    This Inner Loop Header: Depth=3
	s_clause 0x1
	global_load_b64 v[36:37], v1, s[70:71]
	global_load_b64 v[38:39], v1, s[68:69]
	global_load_b64 v[40:41], v[34:35], off
	s_wait_loadcnt 0x3
	v_mov_b64_e32 v[42:43], v[32:33]
	s_add_co_i32 s73, s73, -1
	s_wait_xcnt 0x2
	s_add_nc_u64 s[70:71], s[70:71], 8
	s_cmp_eq_u32 s73, 0
	s_wait_xcnt 0x1
	s_add_nc_u64 s[68:69], s[68:69], 8
	s_wait_loadcnt 0x2
	v_mul_f64_e32 v[44:45], v[42:43], v[36:37]
	s_wait_loadcnt 0x0
	v_mul_f64_e32 v[32:33], v[36:37], v[40:41]
	s_delay_alu instid0(VALU_DEP_2) | instskip(NEXT) | instid1(VALU_DEP_2)
	v_fma_f64 v[36:37], v[38:39], v[40:41], -v[44:45]
	v_fmac_f64_e32 v[32:33], v[42:43], v[38:39]
	global_store_b64 v[34:35], v[36:37], off
	s_wait_xcnt 0x0
	v_add_nc_u64_e32 v[34:35], s[42:43], v[34:35]
	s_cbranch_scc0 .LBB10_43
	s_branch .LBB10_41
.LBB10_44:                              ;   in Loop: Header=BB10_4 Depth=1
	s_or_b32 exec_lo, exec_lo, s47
.LBB10_45:                              ;   in Loop: Header=BB10_4 Depth=1
	s_mov_b32 s47, 0
.LBB10_46:                              ;   in Loop: Header=BB10_4 Depth=1
	s_delay_alu instid0(SALU_CYCLE_1)
	s_and_not1_b32 vcc_lo, exec_lo, s47
	s_cbranch_vccnz .LBB10_54
; %bb.47:                               ;   in Loop: Header=BB10_4 Depth=1
	s_and_saveexec_b32 s47, s0
	s_cbranch_execz .LBB10_53
; %bb.48:                               ;   in Loop: Header=BB10_4 Depth=1
	v_mov_b32_e32 v28, v0
	s_lshl_b64 s[68:69], s[28:29], 3
	s_mov_b32 s89, 0
	s_add_nc_u64 s[68:69], s[56:57], s[68:69]
	s_branch .LBB10_50
.LBB10_49:                              ;   in Loop: Header=BB10_50 Depth=2
	v_ashrrev_i32_e32 v29, 31, v28
	v_add_nc_u64_e32 v[24:25], s[40:41], v[24:25]
	v_add_nc_u64_e32 v[26:27], s[40:41], v[26:27]
	s_wait_xcnt 0x0
	s_delay_alu instid0(VALU_DEP_3)
	v_lshl_add_u64 v[32:33], v[28:29], 3, s[56:57]
	v_add_nc_u32_e32 v28, s12, v28
	s_wait_loadcnt 0x0
	global_store_b64 v[32:33], v[30:31], off
	v_cmp_le_i32_e32 vcc_lo, s15, v28
	s_or_b32 s89, vcc_lo, s89
	s_wait_xcnt 0x0
	s_and_not1_b32 exec_lo, exec_lo, s89
	s_cbranch_execz .LBB10_53
.LBB10_50:                              ;   Parent Loop BB10_4 Depth=1
                                        ; =>  This Loop Header: Depth=2
                                        ;       Child Loop BB10_52 Depth 3
	global_load_b64 v[30:31], v28, s[68:69] scale_offset
	s_and_not1_b32 vcc_lo, exec_lo, s87
	s_cbranch_vccnz .LBB10_49
; %bb.51:                               ;   in Loop: Header=BB10_50 Depth=2
	s_mov_b64 s[70:71], 0
	s_mov_b64 s[72:73], s[66:67]
	;; [unrolled: 1-line block ×3, first 2 shown]
	s_mov_b32 s90, s26
.LBB10_52:                              ;   Parent Loop BB10_4 Depth=1
                                        ;     Parent Loop BB10_50 Depth=2
                                        ; =>    This Inner Loop Header: Depth=3
	s_wait_xcnt 0x0
	v_add_nc_u64_e32 v[32:33], s[70:71], v[26:27]
	s_wait_loadcnt 0x0
	v_mov_b64_e32 v[38:39], v[30:31]
	s_add_co_i32 s90, s90, -1
	s_clause 0x1
	global_load_b64 v[34:35], v1, s[74:75]
	global_load_b64 v[36:37], v1, s[72:73]
	global_load_b64 v[32:33], v[32:33], off
	s_wait_xcnt 0x2
	s_add_nc_u64 s[74:75], s[74:75], -8
	s_cmp_eq_u32 s90, 0
	s_wait_xcnt 0x1
	s_add_nc_u64 s[72:73], s[72:73], -8
	s_wait_loadcnt 0x0
	v_mul_f64_e32 v[40:41], v[36:37], v[32:33]
	v_mul_f64_e32 v[30:31], v[34:35], v[32:33]
	s_wait_xcnt 0x0
	s_delay_alu instid0(VALU_DEP_2) | instskip(NEXT) | instid1(VALU_DEP_2)
	v_fma_f64 v[32:33], v[38:39], v[34:35], -v[40:41]
	v_fmac_f64_e32 v[30:31], v[38:39], v[36:37]
	v_add_nc_u64_e32 v[34:35], s[70:71], v[24:25]
	s_sub_nc_u64 s[70:71], s[70:71], s[42:43]
	global_store_b64 v[34:35], v[32:33], off
	s_cbranch_scc0 .LBB10_52
	s_branch .LBB10_49
.LBB10_53:                              ;   in Loop: Header=BB10_4 Depth=1
	s_or_b32 exec_lo, exec_lo, s47
.LBB10_54:                              ;   in Loop: Header=BB10_4 Depth=1
	s_mov_b32 s47, 0
.LBB10_55:                              ;   in Loop: Header=BB10_4 Depth=1
	s_delay_alu instid0(SALU_CYCLE_1)
	s_and_not1_b32 vcc_lo, exec_lo, s47
	s_cbranch_vccnz .LBB10_62
; %bb.56:                               ;   in Loop: Header=BB10_4 Depth=1
	s_and_saveexec_b32 s47, s0
	s_cbranch_execz .LBB10_61
; %bb.57:                               ;   in Loop: Header=BB10_4 Depth=1
	v_mov_b32_e32 v24, v0
	s_lshl_b64 s[64:65], s[28:29], 3
	s_mov_b32 s70, 0
	s_add_nc_u64 s[64:65], s[56:57], s[64:65]
	s_branch .LBB10_59
.LBB10_58:                              ;   in Loop: Header=BB10_59 Depth=2
	v_ashrrev_i32_e32 v25, 31, v24
	v_add_nc_u64_e32 v[22:23], s[40:41], v[22:23]
	s_delay_alu instid0(VALU_DEP_2)
	v_lshl_add_u64 v[28:29], v[24:25], 3, s[64:65]
	s_wait_xcnt 0x0
	v_add_nc_u32_e32 v24, s12, v24
	s_wait_loadcnt 0x0
	global_store_b64 v[28:29], v[26:27], off
	v_cmp_le_i32_e32 vcc_lo, s15, v24
	s_or_b32 s70, vcc_lo, s70
	s_wait_xcnt 0x0
	s_and_not1_b32 exec_lo, exec_lo, s70
	s_cbranch_execz .LBB10_61
.LBB10_59:                              ;   Parent Loop BB10_4 Depth=1
                                        ; =>  This Loop Header: Depth=2
                                        ;       Child Loop BB10_60 Depth 3
	global_load_b64 v[26:27], v24, s[56:57] scale_offset
	v_mov_b64_e32 v[28:29], v[22:23]
	s_and_not1_b32 vcc_lo, exec_lo, s87
	s_mov_b64 s[66:67], s[54:55]
	s_mov_b64 s[68:69], s[52:53]
	s_mov_b32 s71, s26
	s_cbranch_vccnz .LBB10_58
.LBB10_60:                              ;   Parent Loop BB10_4 Depth=1
                                        ;     Parent Loop BB10_59 Depth=2
                                        ; =>    This Inner Loop Header: Depth=3
	s_delay_alu instid0(VALU_DEP_1)
	v_add_nc_u64_e32 v[30:31], s[42:43], v[28:29]
	s_add_co_i32 s71, s71, -1
	global_load_b64 v[32:33], v[30:31], off
	s_clause 0x1
	global_load_b64 v[34:35], v1, s[66:67]
	global_load_b64 v[36:37], v1, s[68:69]
	s_wait_xcnt 0x0
	s_add_nc_u64 s[68:69], s[68:69], 8
	s_cmp_eq_u32 s71, 0
	s_add_nc_u64 s[66:67], s[66:67], 8
	s_wait_loadcnt 0x1
	v_mul_f64_e32 v[38:39], v[34:35], v[32:33]
	v_mul_f64_e32 v[34:35], v[26:27], v[34:35]
	s_wait_loadcnt 0x0
	s_delay_alu instid0(VALU_DEP_2) | instskip(NEXT) | instid1(VALU_DEP_2)
	v_fmac_f64_e32 v[38:39], v[26:27], v[36:37]
	v_fma_f64 v[26:27], v[36:37], v[32:33], -v[34:35]
	global_store_b64 v[28:29], v[38:39], off
	s_wait_xcnt 0x0
	v_mov_b64_e32 v[28:29], v[30:31]
	s_cbranch_scc0 .LBB10_60
	s_branch .LBB10_58
.LBB10_61:                              ;   in Loop: Header=BB10_4 Depth=1
	s_or_b32 exec_lo, exec_lo, s47
.LBB10_62:                              ;   in Loop: Header=BB10_4 Depth=1
	s_mov_b32 s47, 0
.LBB10_63:                              ;   in Loop: Header=BB10_4 Depth=1
	s_delay_alu instid0(SALU_CYCLE_1)
	s_and_not1_b32 vcc_lo, exec_lo, s47
	s_cbranch_vccnz .LBB10_70
; %bb.64:                               ;   in Loop: Header=BB10_4 Depth=1
	s_and_saveexec_b32 s47, s1
	s_cbranch_execz .LBB10_69
; %bb.65:                               ;   in Loop: Header=BB10_4 Depth=1
	v_add_nc_u64_e32 v[22:23], s[62:63], v[12:13]
	v_mov_b32_e32 v24, v0
	s_lshl_b64 s[64:65], s[30:31], 3
	s_mov_b32 s70, 0
	s_add_nc_u64 s[64:65], s[56:57], s[64:65]
	s_branch .LBB10_67
.LBB10_66:                              ;   in Loop: Header=BB10_67 Depth=2
	v_add_nc_u32_e32 v24, s12, v24
	v_add_nc_u64_e32 v[22:23], s[50:51], v[22:23]
	s_wait_loadcnt 0x0
	global_store_b64 v[26:27], v[28:29], off offset:-8
	v_cmp_le_i32_e32 vcc_lo, s23, v24
	s_or_b32 s70, vcc_lo, s70
	s_wait_xcnt 0x0
	s_and_not1_b32 exec_lo, exec_lo, s70
	s_cbranch_execz .LBB10_69
.LBB10_67:                              ;   Parent Loop BB10_4 Depth=1
                                        ; =>  This Loop Header: Depth=2
                                        ;       Child Loop BB10_68 Depth 3
	v_ashrrev_i32_e32 v25, 31, v24
	v_mov_b64_e32 v[30:31], v[22:23]
	s_and_not1_b32 vcc_lo, exec_lo, s88
	s_mov_b64 s[66:67], s[60:61]
	s_mov_b64 s[68:69], s[58:59]
	v_mul_u64_e32 v[26:27], s[20:21], v[24:25]
	s_mov_b32 s71, s46
	s_delay_alu instid0(VALU_DEP_1)
	v_lshl_add_u64 v[26:27], v[26:27], 3, s[64:65]
	global_load_b64 v[28:29], v[26:27], off offset:-8
	s_cbranch_vccnz .LBB10_66
.LBB10_68:                              ;   Parent Loop BB10_4 Depth=1
                                        ;     Parent Loop BB10_67 Depth=2
                                        ; =>    This Inner Loop Header: Depth=3
	global_load_b64 v[32:33], v[30:31], off
	s_clause 0x1
	global_load_b64 v[34:35], v1, s[68:69]
	global_load_b64 v[36:37], v1, s[66:67]
	s_add_co_i32 s71, s71, -1
	s_wait_xcnt 0x1
	s_add_nc_u64 s[68:69], s[68:69], -8
	s_cmp_eq_u32 s71, 0
	s_wait_xcnt 0x0
	s_add_nc_u64 s[66:67], s[66:67], -8
	s_wait_loadcnt 0x1
	v_mul_f64_e32 v[38:39], v[34:35], v[32:33]
	s_wait_loadcnt 0x0
	v_mul_f64_e32 v[32:33], v[36:37], v[32:33]
	s_delay_alu instid0(VALU_DEP_2) | instskip(NEXT) | instid1(VALU_DEP_2)
	v_fmac_f64_e32 v[38:39], v[28:29], v[36:37]
	v_fma_f64 v[28:29], v[28:29], v[34:35], -v[32:33]
	global_store_b64 v[30:31], v[38:39], off
	s_wait_xcnt 0x0
	v_add_nc_u64_e32 v[30:31], -8, v[30:31]
	s_cbranch_scc0 .LBB10_68
	s_branch .LBB10_66
.LBB10_69:                              ;   in Loop: Header=BB10_4 Depth=1
	s_or_b32 exec_lo, exec_lo, s47
.LBB10_70:                              ;   in Loop: Header=BB10_4 Depth=1
	s_mov_b32 s47, 0
.LBB10_71:                              ;   in Loop: Header=BB10_4 Depth=1
	s_delay_alu instid0(SALU_CYCLE_1)
	s_and_not1_b32 vcc_lo, exec_lo, s47
	s_cbranch_vccnz .LBB10_78
; %bb.72:                               ;   in Loop: Header=BB10_4 Depth=1
	s_and_saveexec_b32 s47, s1
	s_cbranch_execz .LBB10_77
; %bb.73:                               ;   in Loop: Header=BB10_4 Depth=1
	v_add_nc_u64_e32 v[22:23], s[62:63], v[10:11]
	v_mov_b32_e32 v24, v0
	s_lshl_b64 s[64:65], s[30:31], 3
	s_mov_b32 s70, 0
	s_add_nc_u64 s[64:65], s[56:57], s[64:65]
	s_branch .LBB10_75
.LBB10_74:                              ;   in Loop: Header=BB10_75 Depth=2
	v_add_nc_u32_e32 v24, s12, v24
	v_add_nc_u64_e32 v[22:23], s[50:51], v[22:23]
	s_wait_loadcnt 0x0
	global_store_b64 v[26:27], v[28:29], off offset:-8
	v_cmp_le_i32_e32 vcc_lo, s23, v24
	s_or_b32 s70, vcc_lo, s70
	s_wait_xcnt 0x0
	s_and_not1_b32 exec_lo, exec_lo, s70
	s_cbranch_execz .LBB10_77
.LBB10_75:                              ;   Parent Loop BB10_4 Depth=1
                                        ; =>  This Loop Header: Depth=2
                                        ;       Child Loop BB10_76 Depth 3
	v_ashrrev_i32_e32 v25, 31, v24
	v_mov_b64_e32 v[30:31], v[22:23]
	s_and_not1_b32 vcc_lo, exec_lo, s88
	s_mov_b64 s[66:67], s[54:55]
	s_mov_b64 s[68:69], s[52:53]
	v_mul_u64_e32 v[26:27], s[20:21], v[24:25]
	s_mov_b32 s71, s46
	s_delay_alu instid0(VALU_DEP_1)
	v_lshl_add_u64 v[26:27], v[26:27], 3, s[64:65]
	global_load_b64 v[28:29], v[26:27], off offset:-8
	s_cbranch_vccnz .LBB10_74
.LBB10_76:                              ;   Parent Loop BB10_4 Depth=1
                                        ;     Parent Loop BB10_75 Depth=2
                                        ; =>    This Inner Loop Header: Depth=3
	global_load_b64 v[32:33], v[30:31], off
	s_clause 0x1
	global_load_b64 v[34:35], v1, s[68:69]
	global_load_b64 v[36:37], v1, s[66:67]
	s_add_co_i32 s71, s71, -1
	s_wait_xcnt 0x1
	s_add_nc_u64 s[68:69], s[68:69], 8
	s_cmp_eq_u32 s71, 0
	s_wait_xcnt 0x0
	s_add_nc_u64 s[66:67], s[66:67], 8
	s_wait_loadcnt 0x1
	v_mul_f64_e32 v[38:39], v[34:35], v[32:33]
	s_wait_loadcnt 0x0
	v_mul_f64_e32 v[32:33], v[36:37], v[32:33]
	s_delay_alu instid0(VALU_DEP_2) | instskip(NEXT) | instid1(VALU_DEP_2)
	v_fmac_f64_e32 v[38:39], v[28:29], v[36:37]
	v_fma_f64 v[28:29], v[28:29], v[34:35], -v[32:33]
	global_store_b64 v[30:31], v[38:39], off
	s_wait_xcnt 0x0
	v_add_nc_u64_e32 v[30:31], 8, v[30:31]
	s_cbranch_scc0 .LBB10_76
	s_branch .LBB10_74
.LBB10_77:                              ;   in Loop: Header=BB10_4 Depth=1
	s_or_b32 exec_lo, exec_lo, s47
.LBB10_78:                              ;   in Loop: Header=BB10_4 Depth=1
	s_mov_b32 s47, 0
.LBB10_79:                              ;   in Loop: Header=BB10_4 Depth=1
	s_delay_alu instid0(SALU_CYCLE_1)
	s_and_not1_b32 vcc_lo, exec_lo, s47
	s_cbranch_vccnz .LBB10_86
; %bb.80:                               ;   in Loop: Header=BB10_4 Depth=1
	s_and_saveexec_b32 s47, s1
	s_cbranch_execz .LBB10_85
; %bb.81:                               ;   in Loop: Header=BB10_4 Depth=1
	v_add_nc_u64_e32 v[22:23], s[62:63], v[14:15]
	v_mov_b32_e32 v24, v0
	s_mov_b32 s68, 0
	s_branch .LBB10_83
.LBB10_82:                              ;   in Loop: Header=BB10_83 Depth=2
	v_add_nc_u32_e32 v24, s12, v24
	v_add_nc_u64_e32 v[22:23], s[50:51], v[22:23]
	s_wait_loadcnt 0x0
	global_store_b64 v[26:27], v[28:29], off
	v_cmp_le_i32_e32 vcc_lo, s23, v24
	s_or_b32 s68, vcc_lo, s68
	s_wait_xcnt 0x0
	s_and_not1_b32 exec_lo, exec_lo, s68
	s_cbranch_execz .LBB10_85
.LBB10_83:                              ;   Parent Loop BB10_4 Depth=1
                                        ; =>  This Loop Header: Depth=2
                                        ;       Child Loop BB10_84 Depth 3
	s_delay_alu instid0(VALU_DEP_1) | instskip(NEXT) | instid1(VALU_DEP_3)
	v_ashrrev_i32_e32 v25, 31, v24
	v_mov_b64_e32 v[30:31], v[22:23]
	s_and_not1_b32 vcc_lo, exec_lo, s88
	s_mov_b64 s[64:65], s[60:61]
	s_mov_b64 s[66:67], s[58:59]
	v_mul_u64_e32 v[26:27], s[20:21], v[24:25]
	s_mov_b32 s69, s13
	s_delay_alu instid0(VALU_DEP_1)
	v_lshl_add_u64 v[26:27], v[26:27], 3, s[56:57]
	global_load_b64 v[28:29], v[26:27], off
	s_cbranch_vccnz .LBB10_82
.LBB10_84:                              ;   Parent Loop BB10_4 Depth=1
                                        ;     Parent Loop BB10_83 Depth=2
                                        ; =>    This Inner Loop Header: Depth=3
	s_clause 0x1
	global_load_b64 v[32:33], v1, s[64:65]
	global_load_b64 v[34:35], v1, s[66:67]
	global_load_b64 v[36:37], v[30:31], off
	s_wait_loadcnt 0x3
	v_mov_b64_e32 v[38:39], v[28:29]
	s_add_co_i32 s69, s69, -1
	s_wait_xcnt 0x1
	s_add_nc_u64 s[66:67], s[66:67], -8
	s_cmp_lt_u32 s69, 3
	s_add_nc_u64 s[64:65], s[64:65], -8
	s_wait_loadcnt 0x2
	v_mul_f64_e32 v[40:41], v[38:39], v[32:33]
	s_wait_loadcnt 0x0
	v_mul_f64_e32 v[28:29], v[32:33], v[36:37]
	s_delay_alu instid0(VALU_DEP_2) | instskip(NEXT) | instid1(VALU_DEP_2)
	v_fma_f64 v[32:33], v[34:35], v[36:37], -v[40:41]
	v_fmac_f64_e32 v[28:29], v[38:39], v[34:35]
	global_store_b64 v[30:31], v[32:33], off
	s_wait_xcnt 0x0
	v_add_nc_u64_e32 v[30:31], -8, v[30:31]
	s_cbranch_scc0 .LBB10_84
	s_branch .LBB10_82
.LBB10_85:                              ;   in Loop: Header=BB10_4 Depth=1
	s_or_b32 exec_lo, exec_lo, s47
.LBB10_86:                              ;   in Loop: Header=BB10_4 Depth=1
	s_mov_b32 s47, 0
.LBB10_87:                              ;   in Loop: Header=BB10_4 Depth=1
	s_delay_alu instid0(SALU_CYCLE_1)
	s_and_not1_b32 vcc_lo, exec_lo, s47
	s_cbranch_vccnz .LBB10_94
; %bb.88:                               ;   in Loop: Header=BB10_4 Depth=1
	s_and_saveexec_b32 s47, s1
	s_cbranch_execz .LBB10_93
; %bb.89:                               ;   in Loop: Header=BB10_4 Depth=1
	v_mov_b64_e32 v[22:23], v[20:21]
	v_mov_b32_e32 v24, v0
	s_mov_b32 s68, 0
	s_branch .LBB10_91
.LBB10_90:                              ;   in Loop: Header=BB10_91 Depth=2
	v_add_nc_u32_e32 v24, s12, v24
	v_add_nc_u64_e32 v[22:23], s[50:51], v[22:23]
	s_wait_loadcnt 0x0
	global_store_b64 v[26:27], v[28:29], off
	v_cmp_le_i32_e32 vcc_lo, s23, v24
	s_or_b32 s68, vcc_lo, s68
	s_wait_xcnt 0x0
	s_and_not1_b32 exec_lo, exec_lo, s68
	s_cbranch_execz .LBB10_93
.LBB10_91:                              ;   Parent Loop BB10_4 Depth=1
                                        ; =>  This Loop Header: Depth=2
                                        ;       Child Loop BB10_92 Depth 3
	s_delay_alu instid0(VALU_DEP_1) | instskip(NEXT) | instid1(VALU_DEP_3)
	v_ashrrev_i32_e32 v25, 31, v24
	v_mov_b64_e32 v[30:31], v[22:23]
	s_and_not1_b32 vcc_lo, exec_lo, s88
	s_mov_b32 s69, s46
	s_mov_b64 s[64:65], s[52:53]
	v_mul_u64_e32 v[26:27], s[20:21], v[24:25]
	s_mov_b64 s[66:67], s[54:55]
	s_delay_alu instid0(VALU_DEP_1)
	v_lshl_add_u64 v[26:27], v[26:27], 3, s[56:57]
	global_load_b64 v[28:29], v[26:27], off
	s_cbranch_vccnz .LBB10_90
.LBB10_92:                              ;   Parent Loop BB10_4 Depth=1
                                        ;     Parent Loop BB10_91 Depth=2
                                        ; =>    This Inner Loop Header: Depth=3
	s_clause 0x1
	global_load_b64 v[32:33], v1, s[66:67]
	global_load_b64 v[34:35], v1, s[64:65]
	global_load_b64 v[36:37], v[30:31], off
	s_wait_loadcnt 0x3
	v_mov_b64_e32 v[38:39], v[28:29]
	s_add_co_i32 s69, s69, -1
	s_wait_xcnt 0x2
	s_add_nc_u64 s[66:67], s[66:67], 8
	s_cmp_eq_u32 s69, 0
	s_wait_xcnt 0x1
	s_add_nc_u64 s[64:65], s[64:65], 8
	s_wait_loadcnt 0x2
	v_mul_f64_e32 v[40:41], v[38:39], v[32:33]
	s_wait_loadcnt 0x0
	v_mul_f64_e32 v[28:29], v[32:33], v[36:37]
	s_delay_alu instid0(VALU_DEP_2) | instskip(NEXT) | instid1(VALU_DEP_2)
	v_fma_f64 v[32:33], v[34:35], v[36:37], -v[40:41]
	v_fmac_f64_e32 v[28:29], v[38:39], v[34:35]
	global_store_b64 v[30:31], v[32:33], off
	s_wait_xcnt 0x0
	v_add_nc_u64_e32 v[30:31], 8, v[30:31]
	s_cbranch_scc0 .LBB10_92
	s_branch .LBB10_90
.LBB10_93:                              ;   in Loop: Header=BB10_4 Depth=1
	s_or_b32 exec_lo, exec_lo, s47
.LBB10_94:                              ;   in Loop: Header=BB10_4 Depth=1
	s_mov_b32 s47, 0
.LBB10_95:                              ;   in Loop: Header=BB10_4 Depth=1
	s_delay_alu instid0(SALU_CYCLE_1)
	s_and_not1_b32 vcc_lo, exec_lo, s47
	s_cbranch_vccnz .LBB10_102
; %bb.96:                               ;   in Loop: Header=BB10_4 Depth=1
	s_and_saveexec_b32 s47, s1
	s_cbranch_execz .LBB10_101
; %bb.97:                               ;   in Loop: Header=BB10_4 Depth=1
	v_add_nc_u64_e32 v[22:23], s[62:63], v[18:19]
	v_mov_b32_e32 v24, v0
	s_lshl_b64 s[62:63], s[30:31], 3
	s_mov_b32 s68, 0
	s_add_nc_u64 s[62:63], s[56:57], s[62:63]
	s_branch .LBB10_99
.LBB10_98:                              ;   in Loop: Header=BB10_99 Depth=2
	v_add_nc_u32_e32 v24, s12, v24
	v_add_nc_u64_e32 v[22:23], s[50:51], v[22:23]
	v_lshl_add_u64 v[26:27], v[26:27], 3, s[56:57]
	s_delay_alu instid0(VALU_DEP_3)
	v_cmp_le_i32_e32 vcc_lo, s23, v24
	s_wait_loadcnt 0x0
	global_store_b64 v[26:27], v[28:29], off
	s_or_b32 s68, vcc_lo, s68
	s_wait_xcnt 0x0
	s_and_not1_b32 exec_lo, exec_lo, s68
	s_cbranch_execz .LBB10_101
.LBB10_99:                              ;   Parent Loop BB10_4 Depth=1
                                        ; =>  This Loop Header: Depth=2
                                        ;       Child Loop BB10_100 Depth 3
	v_ashrrev_i32_e32 v25, 31, v24
	v_mov_b64_e32 v[30:31], v[22:23]
	s_and_not1_b32 vcc_lo, exec_lo, s88
	s_mov_b64 s[64:65], s[60:61]
	s_mov_b64 s[66:67], s[58:59]
	v_mul_u64_e32 v[26:27], s[20:21], v[24:25]
	s_mov_b32 s69, s46
	s_delay_alu instid0(VALU_DEP_1)
	v_lshl_add_u64 v[28:29], v[26:27], 3, s[62:63]
	global_load_b64 v[28:29], v[28:29], off offset:-8
	s_cbranch_vccnz .LBB10_98
.LBB10_100:                             ;   Parent Loop BB10_4 Depth=1
                                        ;     Parent Loop BB10_99 Depth=2
                                        ; =>    This Inner Loop Header: Depth=3
	global_load_b64 v[32:33], v[30:31], off offset:-8
	s_clause 0x1
	global_load_b64 v[34:35], v1, s[64:65]
	global_load_b64 v[36:37], v1, s[66:67]
	s_wait_loadcnt 0x3
	v_mov_b64_e32 v[40:41], v[28:29]
	s_add_co_i32 s69, s69, -1
	s_wait_xcnt 0x0
	s_add_nc_u64 s[66:67], s[66:67], -8
	s_cmp_eq_u32 s69, 0
	s_add_nc_u64 s[64:65], s[64:65], -8
	s_wait_loadcnt 0x1
	v_mul_f64_e32 v[38:39], v[34:35], v[32:33]
	s_wait_loadcnt 0x0
	v_mul_f64_e32 v[28:29], v[36:37], v[32:33]
	s_delay_alu instid0(VALU_DEP_2) | instskip(NEXT) | instid1(VALU_DEP_2)
	v_fma_f64 v[32:33], v[40:41], v[36:37], -v[38:39]
	v_fmac_f64_e32 v[28:29], v[40:41], v[34:35]
	v_add_nc_u64_e32 v[34:35], -8, v[30:31]
	global_store_b64 v[30:31], v[32:33], off
	s_wait_xcnt 0x0
	v_mov_b64_e32 v[30:31], v[34:35]
	s_cbranch_scc0 .LBB10_100
	s_branch .LBB10_98
.LBB10_101:                             ;   in Loop: Header=BB10_4 Depth=1
	s_or_b32 exec_lo, exec_lo, s47
.LBB10_102:                             ;   in Loop: Header=BB10_4 Depth=1
	s_cbranch_execnz .LBB10_3
.LBB10_103:                             ;   in Loop: Header=BB10_4 Depth=1
	s_and_saveexec_b32 s47, s1
	s_cbranch_execz .LBB10_2
; %bb.104:                              ;   in Loop: Header=BB10_4 Depth=1
	v_mov_b32_e32 v22, v0
	s_lshl_b64 s[58:59], s[30:31], 3
	s_mov_b32 s64, 0
	s_add_nc_u64 s[58:59], s[56:57], s[58:59]
	s_branch .LBB10_106
.LBB10_105:                             ;   in Loop: Header=BB10_106 Depth=2
	v_add_nc_u32_e32 v22, s12, v22
	v_add_nc_u64_e32 v[20:21], s[50:51], v[20:21]
	v_lshl_add_u64 v[24:25], v[24:25], 3, s[58:59]
	s_delay_alu instid0(VALU_DEP_3)
	v_cmp_le_i32_e32 vcc_lo, s23, v22
	s_wait_loadcnt 0x0
	global_store_b64 v[24:25], v[26:27], off offset:-8
	s_or_b32 s64, vcc_lo, s64
	s_wait_xcnt 0x0
	s_and_not1_b32 exec_lo, exec_lo, s64
	s_cbranch_execz .LBB10_2
.LBB10_106:                             ;   Parent Loop BB10_4 Depth=1
                                        ; =>  This Loop Header: Depth=2
                                        ;       Child Loop BB10_107 Depth 3
	v_ashrrev_i32_e32 v23, 31, v22
	v_mov_b64_e32 v[28:29], v[20:21]
	s_and_not1_b32 vcc_lo, exec_lo, s88
	s_mov_b64 s[60:61], s[54:55]
	s_mov_b64 s[62:63], s[52:53]
	v_mul_u64_e32 v[24:25], s[20:21], v[22:23]
	s_mov_b32 s65, s46
	s_delay_alu instid0(VALU_DEP_1)
	v_lshl_add_u64 v[26:27], v[24:25], 3, s[56:57]
	global_load_b64 v[26:27], v[26:27], off
	s_cbranch_vccnz .LBB10_105
.LBB10_107:                             ;   Parent Loop BB10_4 Depth=1
                                        ;     Parent Loop BB10_106 Depth=2
                                        ; =>    This Inner Loop Header: Depth=3
	global_load_b64 v[30:31], v[28:29], off
	s_clause 0x1
	global_load_b64 v[32:33], v1, s[60:61]
	global_load_b64 v[34:35], v1, s[62:63]
	s_add_co_i32 s65, s65, -1
	s_wait_xcnt 0x0
	s_add_nc_u64 s[62:63], s[62:63], 8
	s_cmp_eq_u32 s65, 0
	s_add_nc_u64 s[60:61], s[60:61], 8
	s_wait_loadcnt 0x1
	v_mul_f64_e32 v[36:37], v[32:33], v[30:31]
	v_mul_f64_e32 v[32:33], v[26:27], v[32:33]
	s_wait_loadcnt 0x0
	s_delay_alu instid0(VALU_DEP_2) | instskip(NEXT) | instid1(VALU_DEP_2)
	v_fmac_f64_e32 v[36:37], v[26:27], v[34:35]
	v_fma_f64 v[26:27], v[34:35], v[30:31], -v[32:33]
	global_store_b64 v[28:29], v[36:37], off offset:-8
	s_wait_xcnt 0x0
	v_add_nc_u64_e32 v[28:29], 8, v[28:29]
	s_cbranch_scc0 .LBB10_107
	s_branch .LBB10_105
.LBB10_108:
	s_endpgm
	.section	.rodata,"a",@progbits
	.p2align	6, 0x0
	.amdhsa_kernel _ZN9rocsolver6v33100L11lasr_kernelIddPdiEEv13rocblas_side_14rocblas_pivot_15rocblas_direct_T2_S6_PT0_lS8_lT1_lS6_lS6_
		.amdhsa_group_segment_fixed_size 0
		.amdhsa_private_segment_fixed_size 0
		.amdhsa_kernarg_size 352
		.amdhsa_user_sgpr_count 2
		.amdhsa_user_sgpr_dispatch_ptr 0
		.amdhsa_user_sgpr_queue_ptr 0
		.amdhsa_user_sgpr_kernarg_segment_ptr 1
		.amdhsa_user_sgpr_dispatch_id 0
		.amdhsa_user_sgpr_kernarg_preload_length 0
		.amdhsa_user_sgpr_kernarg_preload_offset 0
		.amdhsa_user_sgpr_private_segment_size 0
		.amdhsa_wavefront_size32 1
		.amdhsa_uses_dynamic_stack 0
		.amdhsa_enable_private_segment 0
		.amdhsa_system_sgpr_workgroup_id_x 1
		.amdhsa_system_sgpr_workgroup_id_y 0
		.amdhsa_system_sgpr_workgroup_id_z 1
		.amdhsa_system_sgpr_workgroup_info 0
		.amdhsa_system_vgpr_workitem_id 0
		.amdhsa_next_free_vgpr 46
		.amdhsa_next_free_sgpr 91
		.amdhsa_named_barrier_count 0
		.amdhsa_reserve_vcc 1
		.amdhsa_float_round_mode_32 0
		.amdhsa_float_round_mode_16_64 0
		.amdhsa_float_denorm_mode_32 3
		.amdhsa_float_denorm_mode_16_64 3
		.amdhsa_fp16_overflow 0
		.amdhsa_memory_ordered 1
		.amdhsa_forward_progress 1
		.amdhsa_inst_pref_size 33
		.amdhsa_round_robin_scheduling 0
		.amdhsa_exception_fp_ieee_invalid_op 0
		.amdhsa_exception_fp_denorm_src 0
		.amdhsa_exception_fp_ieee_div_zero 0
		.amdhsa_exception_fp_ieee_overflow 0
		.amdhsa_exception_fp_ieee_underflow 0
		.amdhsa_exception_fp_ieee_inexact 0
		.amdhsa_exception_int_div_zero 0
	.end_amdhsa_kernel
	.section	.text._ZN9rocsolver6v33100L11lasr_kernelIddPdiEEv13rocblas_side_14rocblas_pivot_15rocblas_direct_T2_S6_PT0_lS8_lT1_lS6_lS6_,"axG",@progbits,_ZN9rocsolver6v33100L11lasr_kernelIddPdiEEv13rocblas_side_14rocblas_pivot_15rocblas_direct_T2_S6_PT0_lS8_lT1_lS6_lS6_,comdat
.Lfunc_end10:
	.size	_ZN9rocsolver6v33100L11lasr_kernelIddPdiEEv13rocblas_side_14rocblas_pivot_15rocblas_direct_T2_S6_PT0_lS8_lT1_lS6_lS6_, .Lfunc_end10-_ZN9rocsolver6v33100L11lasr_kernelIddPdiEEv13rocblas_side_14rocblas_pivot_15rocblas_direct_T2_S6_PT0_lS8_lT1_lS6_lS6_
                                        ; -- End function
	.set _ZN9rocsolver6v33100L11lasr_kernelIddPdiEEv13rocblas_side_14rocblas_pivot_15rocblas_direct_T2_S6_PT0_lS8_lT1_lS6_lS6_.num_vgpr, 46
	.set _ZN9rocsolver6v33100L11lasr_kernelIddPdiEEv13rocblas_side_14rocblas_pivot_15rocblas_direct_T2_S6_PT0_lS8_lT1_lS6_lS6_.num_agpr, 0
	.set _ZN9rocsolver6v33100L11lasr_kernelIddPdiEEv13rocblas_side_14rocblas_pivot_15rocblas_direct_T2_S6_PT0_lS8_lT1_lS6_lS6_.numbered_sgpr, 91
	.set _ZN9rocsolver6v33100L11lasr_kernelIddPdiEEv13rocblas_side_14rocblas_pivot_15rocblas_direct_T2_S6_PT0_lS8_lT1_lS6_lS6_.num_named_barrier, 0
	.set _ZN9rocsolver6v33100L11lasr_kernelIddPdiEEv13rocblas_side_14rocblas_pivot_15rocblas_direct_T2_S6_PT0_lS8_lT1_lS6_lS6_.private_seg_size, 0
	.set _ZN9rocsolver6v33100L11lasr_kernelIddPdiEEv13rocblas_side_14rocblas_pivot_15rocblas_direct_T2_S6_PT0_lS8_lT1_lS6_lS6_.uses_vcc, 1
	.set _ZN9rocsolver6v33100L11lasr_kernelIddPdiEEv13rocblas_side_14rocblas_pivot_15rocblas_direct_T2_S6_PT0_lS8_lT1_lS6_lS6_.uses_flat_scratch, 0
	.set _ZN9rocsolver6v33100L11lasr_kernelIddPdiEEv13rocblas_side_14rocblas_pivot_15rocblas_direct_T2_S6_PT0_lS8_lT1_lS6_lS6_.has_dyn_sized_stack, 0
	.set _ZN9rocsolver6v33100L11lasr_kernelIddPdiEEv13rocblas_side_14rocblas_pivot_15rocblas_direct_T2_S6_PT0_lS8_lT1_lS6_lS6_.has_recursion, 0
	.set _ZN9rocsolver6v33100L11lasr_kernelIddPdiEEv13rocblas_side_14rocblas_pivot_15rocblas_direct_T2_S6_PT0_lS8_lT1_lS6_lS6_.has_indirect_call, 0
	.section	.AMDGPU.csdata,"",@progbits
; Kernel info:
; codeLenInByte = 4192
; TotalNumSgprs: 93
; NumVgprs: 46
; ScratchSize: 0
; MemoryBound: 0
; FloatMode: 240
; IeeeMode: 1
; LDSByteSize: 0 bytes/workgroup (compile time only)
; SGPRBlocks: 0
; VGPRBlocks: 2
; NumSGPRsForWavesPerEU: 93
; NumVGPRsForWavesPerEU: 46
; NamedBarCnt: 0
; Occupancy: 16
; WaveLimiterHint : 0
; COMPUTE_PGM_RSRC2:SCRATCH_EN: 0
; COMPUTE_PGM_RSRC2:USER_SGPR: 2
; COMPUTE_PGM_RSRC2:TRAP_HANDLER: 0
; COMPUTE_PGM_RSRC2:TGID_X_EN: 1
; COMPUTE_PGM_RSRC2:TGID_Y_EN: 0
; COMPUTE_PGM_RSRC2:TGID_Z_EN: 1
; COMPUTE_PGM_RSRC2:TIDIG_COMP_CNT: 0
	.section	.text._ZN9rocsolver6v33100L11swap_kernelIdiEEvT0_PT_S2_S4_S2_,"axG",@progbits,_ZN9rocsolver6v33100L11swap_kernelIdiEEvT0_PT_S2_S4_S2_,comdat
	.globl	_ZN9rocsolver6v33100L11swap_kernelIdiEEvT0_PT_S2_S4_S2_ ; -- Begin function _ZN9rocsolver6v33100L11swap_kernelIdiEEvT0_PT_S2_S4_S2_
	.p2align	8
	.type	_ZN9rocsolver6v33100L11swap_kernelIdiEEvT0_PT_S2_S4_S2_,@function
_ZN9rocsolver6v33100L11swap_kernelIdiEEvT0_PT_S2_S4_S2_: ; @_ZN9rocsolver6v33100L11swap_kernelIdiEEvT0_PT_S2_S4_S2_
; %bb.0:
	s_load_b32 s12, s[0:1], 0x0
	s_wait_kmcnt 0x0
	s_cmp_lt_i32 s12, 1
	s_cbranch_scc1 .LBB11_10
; %bb.1:
	s_clause 0x2
	s_load_b32 s2, s[0:1], 0x34
	s_load_b96 s[4:6], s[0:1], 0x8
	s_load_b96 s[8:10], s[0:1], 0x18
	s_bfe_u32 s3, ttmp6, 0x4000c
	s_wait_xcnt 0x0
	s_load_b32 s0, s[0:1], 0x28
	s_add_co_i32 s3, s3, 1
	s_wait_xcnt 0x0
	s_and_b32 s1, ttmp6, 15
	s_mul_i32 s3, ttmp9, s3
	s_getreg_b32 s7, hwreg(HW_REG_IB_STS2, 6, 4)
	s_add_co_i32 s1, s1, s3
	s_wait_kmcnt 0x0
	s_and_b32 s2, s2, 0xffff
	s_cmp_eq_u32 s7, 0
	s_cselect_b32 s1, ttmp9, s1
	s_cmp_eq_u32 s6, 1
	v_mad_u32 v0, s1, s2, v0
	s_cselect_b32 s1, -1, 0
	s_cmp_eq_u32 s10, 1
	s_mul_i32 s2, s0, s2
	s_cselect_b32 s3, -1, 0
	s_delay_alu instid0(SALU_CYCLE_1) | instskip(NEXT) | instid1(SALU_CYCLE_1)
	s_and_b32 s1, s1, s3
	s_and_b32 vcc_lo, exec_lo, s1
	s_mov_b32 s1, -1
	s_delay_alu instid0(VALU_DEP_1)
	v_cmp_gt_i32_e64 s0, s12, v0
	s_cbranch_vccnz .LBB11_6
; %bb.2:
	s_and_saveexec_b32 s1, s0
	s_cbranch_execz .LBB11_5
; %bb.3:
	v_ashrrev_i32_e32 v1, 31, v0
	s_ashr_i32 s7, s6, 31
	s_ashr_i32 s11, s10, 31
	;; [unrolled: 1-line block ×3, first 2 shown]
	s_delay_alu instid0(SALU_CYCLE_1)
	s_mul_u64 s[14:15], s[6:7], s[2:3]
	v_mul_u64_e32 v[2:3], s[10:11], v[0:1]
	v_mul_u64_e32 v[4:5], s[6:7], v[0:1]
	v_mov_b32_e32 v1, v0
	s_mul_u64 s[10:11], s[10:11], s[2:3]
	s_mov_b32 s3, 0
	s_lshl_b64 s[6:7], s[10:11], 3
	s_lshl_b64 s[10:11], s[14:15], 3
	s_delay_alu instid0(VALU_DEP_3) | instskip(NEXT) | instid1(VALU_DEP_3)
	v_lshl_add_u64 v[2:3], v[2:3], 3, s[8:9]
	v_lshl_add_u64 v[4:5], v[4:5], 3, s[4:5]
.LBB11_4:                               ; =>This Inner Loop Header: Depth=1
	global_load_b64 v[6:7], v[4:5], off
	global_load_b64 v[8:9], v[2:3], off
	v_add_nc_u32_e32 v1, s2, v1
	s_wait_loadcnt 0x1
	global_store_b64 v[2:3], v[6:7], off
	s_wait_loadcnt 0x0
	global_store_b64 v[4:5], v[8:9], off
	v_cmp_le_i32_e32 vcc_lo, s12, v1
	s_wait_xcnt 0x1
	v_add_nc_u64_e32 v[2:3], s[6:7], v[2:3]
	s_wait_xcnt 0x0
	v_add_nc_u64_e32 v[4:5], s[10:11], v[4:5]
	s_or_b32 s3, vcc_lo, s3
	s_delay_alu instid0(SALU_CYCLE_1)
	s_and_not1_b32 exec_lo, exec_lo, s3
	s_cbranch_execnz .LBB11_4
.LBB11_5:
	s_or_b32 exec_lo, exec_lo, s1
	s_mov_b32 s1, 0
.LBB11_6:
	s_delay_alu instid0(SALU_CYCLE_1)
	s_and_not1_b32 vcc_lo, exec_lo, s1
	s_cbranch_vccnz .LBB11_10
; %bb.7:
	s_and_saveexec_b32 s1, s0
	s_cbranch_execz .LBB11_10
; %bb.8:
	v_ashrrev_i32_e32 v1, 31, v0
	s_ashr_i32 s3, s2, 31
	s_delay_alu instid0(SALU_CYCLE_1) | instskip(SKIP_1) | instid1(VALU_DEP_1)
	s_lshl_b64 s[0:1], s[2:3], 3
	s_mov_b32 s3, 0
	v_lshlrev_b64_e32 v[2:3], 3, v[0:1]
.LBB11_9:                               ; =>This Inner Loop Header: Depth=1
	s_delay_alu instid0(VALU_DEP_1)
	v_add_nc_u64_e32 v[4:5], s[4:5], v[2:3]
	v_add_nc_u64_e32 v[6:7], s[8:9], v[2:3]
	v_add_nc_u32_e32 v0, s2, v0
	v_add_nc_u64_e32 v[2:3], s[0:1], v[2:3]
	global_load_b64 v[8:9], v[4:5], off
	global_load_b64 v[10:11], v[6:7], off
	v_cmp_le_i32_e32 vcc_lo, s12, v0
	s_wait_loadcnt 0x1
	global_store_b64 v[6:7], v[8:9], off
	s_wait_loadcnt 0x0
	global_store_b64 v[4:5], v[10:11], off
	s_or_b32 s3, vcc_lo, s3
	s_wait_xcnt 0x0
	s_and_not1_b32 exec_lo, exec_lo, s3
	s_cbranch_execnz .LBB11_9
.LBB11_10:
	s_endpgm
	.section	.rodata,"a",@progbits
	.p2align	6, 0x0
	.amdhsa_kernel _ZN9rocsolver6v33100L11swap_kernelIdiEEvT0_PT_S2_S4_S2_
		.amdhsa_group_segment_fixed_size 0
		.amdhsa_private_segment_fixed_size 0
		.amdhsa_kernarg_size 296
		.amdhsa_user_sgpr_count 2
		.amdhsa_user_sgpr_dispatch_ptr 0
		.amdhsa_user_sgpr_queue_ptr 0
		.amdhsa_user_sgpr_kernarg_segment_ptr 1
		.amdhsa_user_sgpr_dispatch_id 0
		.amdhsa_user_sgpr_kernarg_preload_length 0
		.amdhsa_user_sgpr_kernarg_preload_offset 0
		.amdhsa_user_sgpr_private_segment_size 0
		.amdhsa_wavefront_size32 1
		.amdhsa_uses_dynamic_stack 0
		.amdhsa_enable_private_segment 0
		.amdhsa_system_sgpr_workgroup_id_x 1
		.amdhsa_system_sgpr_workgroup_id_y 0
		.amdhsa_system_sgpr_workgroup_id_z 0
		.amdhsa_system_sgpr_workgroup_info 0
		.amdhsa_system_vgpr_workitem_id 0
		.amdhsa_next_free_vgpr 12
		.amdhsa_next_free_sgpr 16
		.amdhsa_named_barrier_count 0
		.amdhsa_reserve_vcc 1
		.amdhsa_float_round_mode_32 0
		.amdhsa_float_round_mode_16_64 0
		.amdhsa_float_denorm_mode_32 3
		.amdhsa_float_denorm_mode_16_64 3
		.amdhsa_fp16_overflow 0
		.amdhsa_memory_ordered 1
		.amdhsa_forward_progress 1
		.amdhsa_inst_pref_size 4
		.amdhsa_round_robin_scheduling 0
		.amdhsa_exception_fp_ieee_invalid_op 0
		.amdhsa_exception_fp_denorm_src 0
		.amdhsa_exception_fp_ieee_div_zero 0
		.amdhsa_exception_fp_ieee_overflow 0
		.amdhsa_exception_fp_ieee_underflow 0
		.amdhsa_exception_fp_ieee_inexact 0
		.amdhsa_exception_int_div_zero 0
	.end_amdhsa_kernel
	.section	.text._ZN9rocsolver6v33100L11swap_kernelIdiEEvT0_PT_S2_S4_S2_,"axG",@progbits,_ZN9rocsolver6v33100L11swap_kernelIdiEEvT0_PT_S2_S4_S2_,comdat
.Lfunc_end11:
	.size	_ZN9rocsolver6v33100L11swap_kernelIdiEEvT0_PT_S2_S4_S2_, .Lfunc_end11-_ZN9rocsolver6v33100L11swap_kernelIdiEEvT0_PT_S2_S4_S2_
                                        ; -- End function
	.set _ZN9rocsolver6v33100L11swap_kernelIdiEEvT0_PT_S2_S4_S2_.num_vgpr, 12
	.set _ZN9rocsolver6v33100L11swap_kernelIdiEEvT0_PT_S2_S4_S2_.num_agpr, 0
	.set _ZN9rocsolver6v33100L11swap_kernelIdiEEvT0_PT_S2_S4_S2_.numbered_sgpr, 16
	.set _ZN9rocsolver6v33100L11swap_kernelIdiEEvT0_PT_S2_S4_S2_.num_named_barrier, 0
	.set _ZN9rocsolver6v33100L11swap_kernelIdiEEvT0_PT_S2_S4_S2_.private_seg_size, 0
	.set _ZN9rocsolver6v33100L11swap_kernelIdiEEvT0_PT_S2_S4_S2_.uses_vcc, 1
	.set _ZN9rocsolver6v33100L11swap_kernelIdiEEvT0_PT_S2_S4_S2_.uses_flat_scratch, 0
	.set _ZN9rocsolver6v33100L11swap_kernelIdiEEvT0_PT_S2_S4_S2_.has_dyn_sized_stack, 0
	.set _ZN9rocsolver6v33100L11swap_kernelIdiEEvT0_PT_S2_S4_S2_.has_recursion, 0
	.set _ZN9rocsolver6v33100L11swap_kernelIdiEEvT0_PT_S2_S4_S2_.has_indirect_call, 0
	.section	.AMDGPU.csdata,"",@progbits
; Kernel info:
; codeLenInByte = 500
; TotalNumSgprs: 18
; NumVgprs: 12
; ScratchSize: 0
; MemoryBound: 0
; FloatMode: 240
; IeeeMode: 1
; LDSByteSize: 0 bytes/workgroup (compile time only)
; SGPRBlocks: 0
; VGPRBlocks: 0
; NumSGPRsForWavesPerEU: 18
; NumVGPRsForWavesPerEU: 12
; NamedBarCnt: 0
; Occupancy: 16
; WaveLimiterHint : 0
; COMPUTE_PGM_RSRC2:SCRATCH_EN: 0
; COMPUTE_PGM_RSRC2:USER_SGPR: 2
; COMPUTE_PGM_RSRC2:TRAP_HANDLER: 0
; COMPUTE_PGM_RSRC2:TGID_X_EN: 1
; COMPUTE_PGM_RSRC2:TGID_Y_EN: 0
; COMPUTE_PGM_RSRC2:TGID_Z_EN: 0
; COMPUTE_PGM_RSRC2:TIDIG_COMP_CNT: 0
	.section	.text._ZN9rocsolver6v33100L12steqr_kernelIddPdEEviPT0_lS4_lT1_iilPiS4_iS3_S3_S3_,"axG",@progbits,_ZN9rocsolver6v33100L12steqr_kernelIddPdEEviPT0_lS4_lT1_iilPiS4_iS3_S3_S3_,comdat
	.globl	_ZN9rocsolver6v33100L12steqr_kernelIddPdEEviPT0_lS4_lT1_iilPiS4_iS3_S3_S3_ ; -- Begin function _ZN9rocsolver6v33100L12steqr_kernelIddPdEEviPT0_lS4_lT1_iilPiS4_iS3_S3_S3_
	.p2align	8
	.type	_ZN9rocsolver6v33100L12steqr_kernelIddPdEEviPT0_lS4_lT1_iilPiS4_iS3_S3_S3_,@function
_ZN9rocsolver6v33100L12steqr_kernelIddPdEEviPT0_lS4_lT1_iilPiS4_iS3_S3_S3_: ; @_ZN9rocsolver6v33100L12steqr_kernelIddPdEEviPT0_lS4_lT1_iilPiS4_iS3_S3_S3_
; %bb.0:
	s_clause 0x1
	s_load_b32 s2, s[0:1], 0x7c
	s_load_b32 s20, s[0:1], 0x70
	s_bfe_u32 s3, ttmp6, 0x4000c
	s_and_b32 s4, ttmp6, 15
	s_add_co_i32 s5, s3, 1
	s_getreg_b32 s3, hwreg(HW_REG_IB_STS2, 6, 4)
	s_mul_i32 s5, ttmp9, s5
	s_delay_alu instid0(SALU_CYCLE_1) | instskip(SKIP_4) | instid1(SALU_CYCLE_1)
	s_add_co_i32 s4, s4, s5
	s_wait_kmcnt 0x0
	s_and_b32 s21, s2, 0xffff
	s_cmp_eq_u32 s3, 0
	s_cselect_b32 s2, ttmp9, s4
	v_mad_u32 v4, s2, s21, v0
	s_delay_alu instid0(VALU_DEP_1)
	v_cmp_eq_u32_e64 s2, 0, v4
	s_and_saveexec_b32 s4, s2
; %bb.1:
	v_mov_b32_e32 v0, 0
	ds_store_2addr_b32 v0, v0, v0 offset0:6 offset1:9
; %bb.2:
	s_or_b32 exec_lo, exec_lo, s4
	v_mov_b32_e32 v58, 0
	s_load_b32 s28, s[0:1], 0x0
	s_wait_dscnt 0x0
	s_barrier_signal -1
	s_barrier_wait -1
	ds_load_2addr_b32 v[0:1], v58 offset0:6 offset1:9
	s_clause 0x2
	s_load_b96 s[24:26], s[0:1], 0x48
	s_load_b256 s[12:19], s[0:1], 0x8
	s_load_b256 s[4:11], s[0:1], 0x28
	s_bfe_u32 s22, ttmp6, 0x40010
	s_bfe_u32 s23, ttmp6, 0x40004
	s_add_co_i32 s22, s22, 1
	s_mul_i32 s34, s20, s21
	s_mul_i32 s22, ttmp7, s22
	s_delay_alu instid0(SALU_CYCLE_1) | instskip(SKIP_2) | instid1(SALU_CYCLE_1)
	s_add_co_i32 s23, s23, s22
	s_cmp_eq_u32 s3, 0
	s_cselect_b32 s38, ttmp7, s23
	s_ashr_i32 s39, s38, 31
	s_wait_kmcnt 0x0
	s_add_co_i32 s36, s28, -1
	s_wait_dscnt 0x0
	v_cmp_gt_i32_e32 vcc_lo, s28, v0
	v_cmp_gt_i32_e64 s3, s26, v1
	s_mul_u64 s[14:15], s[14:15], s[38:39]
	v_readfirstlane_b32 s74, v0
	s_lshl_b64 s[30:31], s[14:15], 3
	s_mul_u64 s[40:41], s[18:19], s[38:39]
	s_and_b32 s3, vcc_lo, s3
	s_add_nc_u64 s[14:15], s[12:13], s[30:31]
	s_ashr_i32 s19, s6, 31
	s_mov_b32 s18, s6
	s_mul_u64 s[8:9], s[8:9], s[38:39]
	s_and_not1_b32 vcc_lo, exec_lo, s3
	s_cbranch_vccnz .LBB12_231
; %bb.3:
	s_clause 0x1
	s_load_b128 s[20:23], s[0:1], 0x58
	s_load_b64 s[42:43], s[0:1], 0x68
	s_lshl_b32 s46, s28, 1
	s_wait_xcnt 0x0
	s_lshl_b64 s[0:1], s[40:41], 3
	s_ashr_i32 s47, s46, 31
	s_lshl_b64 s[64:65], s[8:9], 3
	s_lshl_b64 s[66:67], s[18:19], 3
	s_mul_u64 s[46:47], s[46:47], s[38:39]
	s_ashr_i32 s29, s28, 31
	v_ashrrev_i32_e32 v5, 31, v4
	s_add_nc_u64 s[44:45], s[16:17], s[0:1]
	s_add_nc_u64 s[0:1], s[4:5], s[64:65]
	s_add_nc_u64 s[64:65], s[64:65], s[66:67]
	s_lshl_b64 s[56:57], s[46:47], 3
	s_lshl_b64 s[62:63], s[28:29], 3
	s_add_nc_u64 s[68:69], s[4:5], s[64:65]
	v_mov_b64_e32 v[8:9], 0
	s_add_nc_u64 s[48:49], s[24:25], s[56:57]
	s_ashr_i32 s51, s7, 31
	s_mov_b32 s50, s7
	s_wait_kmcnt 0x0
	v_mul_f64_e64 v[6:7], s[20:21], s[20:21]
	s_add_nc_u64 s[56:57], s[56:57], s[62:63]
	s_add_nc_u64 s[46:47], s[0:1], s[66:67]
	v_cmp_gt_i32_e64 s0, s28, v4
	v_lshl_add_u64 v[10:11], v[4:5], 3, s[68:69]
	s_add_nc_u64 s[52:53], s[12:13], s[30:31]
	s_ashr_i32 s35, s34, 31
	s_add_nc_u64 s[56:57], s[24:25], s[56:57]
	s_lshl_b64 s[66:67], s[50:51], 3
	s_add_nc_u64 s[54:55], s[52:53], 8
	s_lshl_b64 s[24:25], s[34:35], 3
	s_add_nc_u64 s[56:57], s[56:57], -16
	s_add_nc_u64 s[58:59], s[48:49], -8
	;; [unrolled: 1-line block ×4, first 2 shown]
	s_mov_b64 s[64:65], 0x3ff6a09e667f3bcd
	s_sub_nc_u64 s[68:69], 0, s[66:67]
	s_add_nc_u64 s[70:71], s[52:53], -8
	s_mov_b32 s73, 0
                                        ; implicit-def: $vgpr60
                                        ; implicit-def: $vgpr20_vgpr21
                                        ; implicit-def: $vgpr22_vgpr23
                                        ; implicit-def: $vgpr24_vgpr25
                                        ; implicit-def: $vgpr12_vgpr13
                                        ; implicit-def: $vgpr59
                                        ; implicit-def: $vgpr18_vgpr19
                                        ; implicit-def: $vgpr5
                                        ; implicit-def: $vgpr14_vgpr15
                                        ; implicit-def: $vgpr16_vgpr17
	s_branch .LBB12_7
.LBB12_4:                               ;   in Loop: Header=BB12_7 Depth=1
	s_or_b32 exec_lo, exec_lo, s1
.LBB12_5:                               ;   in Loop: Header=BB12_7 Depth=1
	s_wait_storecnt 0x0
	s_barrier_signal -1
	s_barrier_wait -1
.LBB12_6:                               ;   in Loop: Header=BB12_7 Depth=1
	ds_load_2addr_b32 v[0:1], v58 offset0:6 offset1:9
	s_wait_dscnt 0x0
	v_cmp_gt_i32_e32 vcc_lo, s28, v0
	v_cmp_gt_i32_e64 s1, s26, v1
	v_readfirstlane_b32 s74, v0
	s_and_b32 s1, vcc_lo, s1
	s_delay_alu instid0(SALU_CYCLE_1)
	s_and_not1_b32 vcc_lo, exec_lo, s1
	s_cbranch_vccnz .LBB12_231
.LBB12_7:                               ; =>This Loop Header: Depth=1
                                        ;     Child Loop BB12_15 Depth 2
                                        ;     Child Loop BB12_28 Depth 2
	;; [unrolled: 1-line block ×5, first 2 shown]
                                        ;       Child Loop BB12_157 Depth 3
                                        ;       Child Loop BB12_177 Depth 3
	;; [unrolled: 1-line block ×3, first 2 shown]
                                        ;         Child Loop BB12_229 Depth 4
                                        ;     Child Loop BB12_68 Depth 2
                                        ;       Child Loop BB12_75 Depth 3
                                        ;       Child Loop BB12_95 Depth 3
                                        ;       Child Loop BB12_146 Depth 3
                                        ;         Child Loop BB12_147 Depth 4
                                        ;     Child Loop BB12_58 Depth 2
                                        ;     Child Loop BB12_65 Depth 2
	s_and_saveexec_b32 s3, s2
	s_cbranch_execz .LBB12_31
; %bb.8:                                ;   in Loop: Header=BB12_7 Depth=1
	s_cmp_lt_i32 s74, 1
	s_cbranch_scc1 .LBB12_10
; %bb.9:                                ;   in Loop: Header=BB12_7 Depth=1
	v_mov_b32_e32 v0, s74
	global_store_b64 v0, v[8:9], s[44:45] offset:-8 scale_offset
.LBB12_10:                              ;   in Loop: Header=BB12_7 Depth=1
	s_mov_b32 s27, -1
	s_mov_b32 s1, 0
	s_cmp_lt_i32 s74, s36
	s_mov_b32 s6, 0
	s_cbranch_scc1 .LBB12_12
; %bb.11:                               ;   in Loop: Header=BB12_7 Depth=1
	s_ashr_i32 s75, s74, 31
	s_mov_b32 s27, 0
	s_mov_b32 s6, -1
.LBB12_12:                              ;   in Loop: Header=BB12_7 Depth=1
	s_and_not1_b32 vcc_lo, exec_lo, s27
	s_cbranch_vccnz .LBB12_17
; %bb.13:                               ;   in Loop: Header=BB12_7 Depth=1
	s_ashr_i32 s75, s74, 31
	s_delay_alu instid0(SALU_CYCLE_1)
	s_lshl_b64 s[76:77], s[74:75], 3
	s_mov_b64 s[78:79], s[74:75]
	s_add_nc_u64 s[82:83], s[44:45], s[76:77]
	s_add_nc_u64 s[76:77], s[54:55], s[76:77]
	s_branch .LBB12_15
.LBB12_14:                              ;   in Loop: Header=BB12_15 Depth=2
	s_and_not1_b32 vcc_lo, exec_lo, s27
	s_cbranch_vccz .LBB12_18
.LBB12_15:                              ;   Parent Loop BB12_7 Depth=1
                                        ; =>  This Inner Loop Header: Depth=2
	s_clause 0x1
	global_load_b128 v[0:3], v58, s[76:77] offset:-8
	global_load_b64 v[28:29], v58, s[82:83]
	s_mov_b64 s[80:81], s[82:83]
	s_mov_b64 s[84:85], s[78:79]
                                        ; implicit-def: $sgpr78_sgpr79
                                        ; implicit-def: $sgpr82_sgpr83
	s_wait_loadcnt 0x1
	v_cmp_gt_f64_e64 s1, 0x10000000, |v[0:1]|
	v_cmp_gt_f64_e64 s27, 0x10000000, |v[2:3]|
	s_and_b32 s1, s1, exec_lo
	s_cselect_b32 s1, 0x100, 0
	s_cselect_b32 s33, 0xffffff80, 0
	s_and_b32 s27, s27, exec_lo
	s_cselect_b32 s27, 0x100, 0
	v_ldexp_f64 v[0:1], |v[0:1]|, s1
	v_ldexp_f64 v[2:3], |v[2:3]|, s27
	s_cselect_b32 s1, 0xffffff80, 0
	s_delay_alu instid0(VALU_DEP_2) | instskip(NEXT) | instid1(VALU_DEP_2)
	v_cmp_class_f64_e64 vcc_lo, v[0:1], 0x260
	v_rsq_f64_e32 v[22:23], v[2:3]
	v_rsq_f64_e32 v[20:21], v[0:1]
	s_delay_alu instid0(TRANS32_DEP_2) | instskip(SKIP_1) | instid1(VALU_DEP_1)
	v_mul_f64_e32 v[26:27], v[2:3], v[22:23]
	v_mul_f64_e32 v[22:23], 0.5, v[22:23]
	v_fma_f64 v[32:33], -v[22:23], v[26:27], 0.5
	s_delay_alu instid0(VALU_DEP_1) | instskip(SKIP_1) | instid1(VALU_DEP_2)
	v_fmac_f64_e32 v[26:27], v[26:27], v[32:33]
	v_fmac_f64_e32 v[22:23], v[22:23], v[32:33]
	v_fma_f64 v[32:33], -v[26:27], v[26:27], v[2:3]
	s_delay_alu instid0(VALU_DEP_1) | instskip(NEXT) | instid1(VALU_DEP_1)
	v_fmac_f64_e32 v[26:27], v[32:33], v[22:23]
	v_fma_f64 v[32:33], -v[26:27], v[26:27], v[2:3]
	s_delay_alu instid0(VALU_DEP_1) | instskip(NEXT) | instid1(VALU_DEP_1)
	v_fmac_f64_e32 v[26:27], v[32:33], v[22:23]
	v_ldexp_f64 v[22:23], v[26:27], s1
	v_cmp_class_f64_e64 s1, v[2:3], 0x260
	s_delay_alu instid0(TRANS32_DEP_1) | instskip(NEXT) | instid1(VALU_DEP_2)
	v_mul_f64_e32 v[24:25], v[0:1], v[20:21]
	v_dual_mul_f64 v[20:21], 0.5, v[20:21] :: v_dual_cndmask_b32 v2, v22, v2, s1
	s_delay_alu instid0(VALU_DEP_4) | instskip(NEXT) | instid1(VALU_DEP_2)
	v_cndmask_b32_e64 v3, v23, v3, s1
	v_fma_f64 v[30:31], -v[20:21], v[24:25], 0.5
	s_mov_b32 s1, -1
	s_delay_alu instid0(VALU_DEP_1) | instskip(SKIP_1) | instid1(VALU_DEP_2)
	v_fmac_f64_e32 v[24:25], v[24:25], v[30:31]
	v_fmac_f64_e32 v[20:21], v[20:21], v[30:31]
	v_fma_f64 v[30:31], -v[24:25], v[24:25], v[0:1]
	s_delay_alu instid0(VALU_DEP_1) | instskip(NEXT) | instid1(VALU_DEP_1)
	v_fmac_f64_e32 v[24:25], v[30:31], v[20:21]
	v_fma_f64 v[30:31], -v[24:25], v[24:25], v[0:1]
	s_delay_alu instid0(VALU_DEP_1) | instskip(NEXT) | instid1(VALU_DEP_1)
	v_fmac_f64_e32 v[24:25], v[30:31], v[20:21]
	v_ldexp_f64 v[20:21], v[24:25], s33
	s_delay_alu instid0(VALU_DEP_1) | instskip(NEXT) | instid1(VALU_DEP_1)
	v_dual_cndmask_b32 v1, v21, v1 :: v_dual_cndmask_b32 v0, v20, v0
	v_mul_f64_e32 v[0:1], v[0:1], v[2:3]
	s_delay_alu instid0(VALU_DEP_1) | instskip(SKIP_1) | instid1(VALU_DEP_1)
	v_mul_f64_e32 v[0:1], s[20:21], v[0:1]
	s_wait_loadcnt 0x0
	v_cmp_nle_f64_e64 s27, |v[28:29]|, v[0:1]
	s_and_b32 vcc_lo, exec_lo, s27
	s_mov_b32 s27, -1
	s_cbranch_vccz .LBB12_14
; %bb.16:                               ;   in Loop: Header=BB12_15 Depth=2
	s_add_nc_u64 s[78:79], s[84:85], 1
	s_wait_xcnt 0x0
	s_add_nc_u64 s[82:83], s[80:81], 8
	s_cmp_ge_i32 s78, s36
	s_add_nc_u64 s[76:77], s[76:77], 8
	s_mov_b32 s1, 0
	s_cselect_b32 s27, -1, 0
	s_branch .LBB12_14
.LBB12_17:                              ;   in Loop: Header=BB12_7 Depth=1
	s_mov_b32 s27, s74
	s_mov_b64 s[76:77], s[74:75]
	s_and_b32 vcc_lo, exec_lo, s6
	s_cbranch_vccnz .LBB12_21
	s_branch .LBB12_22
.LBB12_18:                              ;   in Loop: Header=BB12_7 Depth=1
	s_xor_b32 s1, s1, -1
                                        ; implicit-def: $sgpr76_sgpr77
	s_delay_alu instid0(SALU_CYCLE_1)
	s_and_b32 vcc_lo, exec_lo, s1
	s_mov_b32 s1, -1
	s_cbranch_vccz .LBB12_20
; %bb.19:                               ;   in Loop: Header=BB12_7 Depth=1
	s_ashr_i32 s37, s36, 31
	s_mov_b32 s6, -1
	s_mov_b32 s1, 0
	s_wait_xcnt 0x1
	s_mov_b64 s[76:77], s[36:37]
.LBB12_20:                              ;   in Loop: Header=BB12_7 Depth=1
	v_mov_b64_e32 v[20:21], s[84:85]
	v_mov_b64_e32 v[22:23], s[80:81]
	;; [unrolled: 1-line block ×3, first 2 shown]
	v_mov_b32_e32 v60, s84
	s_mov_b32 s27, s36
	s_and_b32 vcc_lo, exec_lo, s6
	s_cbranch_vccz .LBB12_22
.LBB12_21:                              ;   in Loop: Header=BB12_7 Depth=1
	s_wait_xcnt 0x0
	v_mov_b32_e32 v0, s27
	ds_store_b32 v58, v0 offset:20
.LBB12_22:                              ;   in Loop: Header=BB12_7 Depth=1
	v_mov_b64_e32 v[2:3], s[74:75]
	s_wait_xcnt 0x0
	v_mov_b64_e32 v[0:1], s[76:77]
	v_mov_b32_e32 v28, s27
	s_and_not1_b32 vcc_lo, exec_lo, s1
	s_cbranch_vccnz .LBB12_24
; %bb.23:                               ;   in Loop: Header=BB12_7 Depth=1
	v_mov_b64_e32 v[2:3], v[24:25]
	v_mov_b64_e32 v[0:1], v[20:21]
	v_mov_b32_e32 v28, v60
	ds_store_b32 v58, v60 offset:20
	global_store_b64 v[22:23], v[8:9], off
.LBB12_24:                              ;   in Loop: Header=BB12_7 Depth=1
	s_delay_alu instid0(VALU_DEP_2)
	v_lshl_add_u64 v[0:1], v[0:1], 3, s[14:15]
	v_lshl_add_u64 v[26:27], v[2:3], 3, s[14:15]
	s_clause 0x1
	global_load_b64 v[0:1], v[0:1], off
	global_load_b64 v[26:27], v[26:27], off
	s_wait_loadcnt 0x0
	v_cmp_lt_f64_e64 s6, |v[0:1]|, |v[26:27]|
	s_wait_xcnt 0x0
	v_dual_mov_b32 v27, s74 :: v_dual_add_nc_u32 v26, 1, v28
	ds_store_2addr_b32 v58, v28, v28 offset0:8 offset1:10
	ds_store_b32 v58, v27 offset:16
	ds_store_b64 v58, v[26:27] offset:24
	s_and_saveexec_b32 s1, s6
; %bb.25:                               ;   in Loop: Header=BB12_7 Depth=1
	v_mov_b32_e32 v26, s74
	ds_store_2addr_b32 v58, v28, v26 offset0:4 offset1:8
; %bb.26:                               ;   in Loop: Header=BB12_7 Depth=1
	s_or_b32 exec_lo, exec_lo, s1
	v_and_b32_e32 v1, 0x7fffffff, v1
	s_mov_b32 s1, exec_lo
	v_cmpx_lt_i32_e64 s74, v28
	s_cbranch_execz .LBB12_30
; %bb.27:                               ;   in Loop: Header=BB12_7 Depth=1
	v_lshlrev_b64_e32 v[26:27], 3, v[2:3]
	s_mov_b32 s6, 0
	s_delay_alu instid0(VALU_DEP_1)
	v_add_nc_u64_e32 v[2:3], s[52:53], v[26:27]
	v_add_nc_u64_e32 v[26:27], s[44:45], v[26:27]
.LBB12_28:                              ;   Parent Loop BB12_7 Depth=1
                                        ; =>  This Inner Loop Header: Depth=2
	global_load_b64 v[30:31], v[26:27], off
	global_load_b64 v[32:33], v[2:3], off
	v_max_num_f64_e32 v[0:1], v[0:1], v[0:1]
	s_add_co_i32 s74, s74, 1
	s_wait_xcnt 0x0
	v_add_nc_u64_e32 v[2:3], 8, v[2:3]
	v_cmp_ge_i32_e32 vcc_lo, s74, v28
	v_add_nc_u64_e32 v[26:27], 8, v[26:27]
	s_or_b32 s6, vcc_lo, s6
	s_wait_loadcnt 0x1
	v_max_num_f64_e64 v[30:31], |v[30:31]|, |v[30:31]|
	s_wait_loadcnt 0x0
	v_max_num_f64_e64 v[32:33], |v[32:33]|, |v[32:33]|
	s_delay_alu instid0(VALU_DEP_1) | instskip(NEXT) | instid1(VALU_DEP_1)
	v_max_num_f64_e32 v[30:31], v[32:33], v[30:31]
	v_max_num_f64_e32 v[0:1], v[0:1], v[30:31]
	s_and_not1_b32 exec_lo, exec_lo, s6
	s_cbranch_execnz .LBB12_28
; %bb.29:                               ;   in Loop: Header=BB12_7 Depth=1
	s_or_b32 exec_lo, exec_lo, s6
.LBB12_30:                              ;   in Loop: Header=BB12_7 Depth=1
	s_delay_alu instid0(SALU_CYCLE_1)
	s_or_b32 exec_lo, exec_lo, s1
	ds_store_b64 v58, v[0:1] offset:8
.LBB12_31:                              ;   in Loop: Header=BB12_7 Depth=1
	s_or_b32 exec_lo, exec_lo, s3
	s_wait_storecnt_dscnt 0x0
	s_barrier_signal -1
	s_barrier_wait -1
	ds_load_b64 v[0:1], v58 offset:8
	ds_load_2addr_b32 v[2:3], v58 offset0:4 offset1:8
	s_wait_dscnt 0x1
	v_cmp_eq_f64_e32 vcc_lo, 0, v[0:1]
	s_wait_dscnt 0x0
	v_cmp_eq_u32_e64 s1, v3, v2
	s_or_b32 s1, s1, vcc_lo
	s_delay_alu instid0(SALU_CYCLE_1)
	s_and_b32 vcc_lo, exec_lo, s1
	s_cbranch_vccnz .LBB12_6
; %bb.32:                               ;   in Loop: Header=BB12_7 Depth=1
	v_cmp_nlt_f64_e32 vcc_lo, s[42:43], v[0:1]
	s_mov_b32 s1, -1
	s_cbranch_vccz .LBB12_41
; %bb.33:                               ;   in Loop: Header=BB12_7 Depth=1
	v_cmp_ngt_f64_e32 vcc_lo, s[22:23], v[0:1]
	s_cbranch_vccnz .LBB12_40
; %bb.34:                               ;   in Loop: Header=BB12_7 Depth=1
	v_div_scale_f64 v[2:3], null, s[22:23], s[22:23], v[0:1]
	s_delay_alu instid0(VALU_DEP_1) | instskip(SKIP_1) | instid1(TRANS32_DEP_1)
	v_rcp_f64_e32 v[26:27], v[2:3]
	v_nop
	v_fma_f64 v[28:29], -v[2:3], v[26:27], 1.0
	s_delay_alu instid0(VALU_DEP_1) | instskip(NEXT) | instid1(VALU_DEP_1)
	v_fmac_f64_e32 v[26:27], v[26:27], v[28:29]
	v_fma_f64 v[28:29], -v[2:3], v[26:27], 1.0
	s_delay_alu instid0(VALU_DEP_1) | instskip(SKIP_1) | instid1(VALU_DEP_1)
	v_fmac_f64_e32 v[26:27], v[26:27], v[28:29]
	v_div_scale_f64 v[28:29], vcc_lo, v[0:1], s[22:23], v[0:1]
	v_mul_f64_e32 v[30:31], v[28:29], v[26:27]
	s_delay_alu instid0(VALU_DEP_1) | instskip(NEXT) | instid1(VALU_DEP_1)
	v_fma_f64 v[2:3], -v[2:3], v[30:31], v[28:29]
	v_div_fmas_f64 v[2:3], v[2:3], v[26:27], v[30:31]
	ds_load_2addr_b32 v[26:27], v58 offset0:7 offset1:10
	v_div_fixup_f64 v[2:3], v[2:3], s[22:23], v[0:1]
	s_and_saveexec_b32 s1, s2
	s_cbranch_execz .LBB12_36
; %bb.35:                               ;   in Loop: Header=BB12_7 Depth=1
	s_wait_dscnt 0x0
	global_load_b64 v[28:29], v27, s[14:15] scale_offset
	s_wait_loadcnt 0x0
	v_mul_f64_e32 v[28:29], v[2:3], v[28:29]
	global_store_b64 v27, v[28:29], s[14:15] scale_offset
.LBB12_36:                              ;   in Loop: Header=BB12_7 Depth=1
	s_wait_xcnt 0x0
	s_or_b32 exec_lo, exec_lo, s1
	s_wait_dscnt 0x0
	v_add_nc_u32_e32 v28, v26, v4
	s_mov_b32 s1, exec_lo
	s_delay_alu instid0(VALU_DEP_1)
	v_cmpx_lt_i32_e64 v28, v27
	s_cbranch_execz .LBB12_39
; %bb.37:                               ;   in Loop: Header=BB12_7 Depth=1
	v_ashrrev_i32_e32 v29, 31, v28
	s_mov_b32 s3, 0
	s_delay_alu instid0(VALU_DEP_1)
	v_lshlrev_b64_e32 v[30:31], 3, v[28:29]
.LBB12_38:                              ;   Parent Loop BB12_7 Depth=1
                                        ; =>  This Inner Loop Header: Depth=2
	s_delay_alu instid0(VALU_DEP_1)
	v_add_nc_u64_e32 v[32:33], s[14:15], v[30:31]
	v_add_nc_u64_e32 v[36:37], s[44:45], v[30:31]
	;; [unrolled: 1-line block ×3, first 2 shown]
	v_add_nc_u32_e32 v28, s34, v28
	global_load_b64 v[34:35], v[32:33], off
	v_cmp_ge_i32_e32 vcc_lo, v28, v27
	s_or_b32 s3, vcc_lo, s3
	s_wait_loadcnt 0x0
	v_mul_f64_e32 v[34:35], v[2:3], v[34:35]
	global_store_b64 v[32:33], v[34:35], off
	global_load_b64 v[32:33], v[36:37], off
	s_wait_loadcnt 0x0
	v_mul_f64_e32 v[32:33], v[2:3], v[32:33]
	global_store_b64 v[36:37], v[32:33], off
	s_wait_xcnt 0x0
	s_and_not1_b32 exec_lo, exec_lo, s3
	s_cbranch_execnz .LBB12_38
.LBB12_39:                              ;   in Loop: Header=BB12_7 Depth=1
	s_or_b32 exec_lo, exec_lo, s1
.LBB12_40:                              ;   in Loop: Header=BB12_7 Depth=1
	s_mov_b32 s1, 0
.LBB12_41:                              ;   in Loop: Header=BB12_7 Depth=1
	s_delay_alu instid0(SALU_CYCLE_1)
	s_and_not1_b32 vcc_lo, exec_lo, s1
	s_cbranch_vccnz .LBB12_48
; %bb.42:                               ;   in Loop: Header=BB12_7 Depth=1
	v_div_scale_f64 v[2:3], null, s[42:43], s[42:43], v[0:1]
	s_delay_alu instid0(VALU_DEP_1) | instskip(SKIP_1) | instid1(TRANS32_DEP_1)
	v_rcp_f64_e32 v[26:27], v[2:3]
	v_nop
	v_fma_f64 v[28:29], -v[2:3], v[26:27], 1.0
	s_delay_alu instid0(VALU_DEP_1) | instskip(NEXT) | instid1(VALU_DEP_1)
	v_fmac_f64_e32 v[26:27], v[26:27], v[28:29]
	v_fma_f64 v[28:29], -v[2:3], v[26:27], 1.0
	s_delay_alu instid0(VALU_DEP_1) | instskip(SKIP_1) | instid1(VALU_DEP_1)
	v_fmac_f64_e32 v[26:27], v[26:27], v[28:29]
	v_div_scale_f64 v[28:29], vcc_lo, v[0:1], s[42:43], v[0:1]
	v_mul_f64_e32 v[30:31], v[28:29], v[26:27]
	s_delay_alu instid0(VALU_DEP_1) | instskip(NEXT) | instid1(VALU_DEP_1)
	v_fma_f64 v[2:3], -v[2:3], v[30:31], v[28:29]
	v_div_fmas_f64 v[2:3], v[2:3], v[26:27], v[30:31]
	s_delay_alu instid0(VALU_DEP_1)
	v_div_fixup_f64 v[0:1], v[2:3], s[42:43], v[0:1]
	ds_load_2addr_b32 v[2:3], v58 offset0:7 offset1:10
	s_and_saveexec_b32 s1, s2
	s_cbranch_execz .LBB12_44
; %bb.43:                               ;   in Loop: Header=BB12_7 Depth=1
	s_wait_dscnt 0x0
	global_load_b64 v[26:27], v3, s[14:15] scale_offset
	s_wait_loadcnt 0x0
	v_mul_f64_e32 v[26:27], v[0:1], v[26:27]
	global_store_b64 v3, v[26:27], s[14:15] scale_offset
.LBB12_44:                              ;   in Loop: Header=BB12_7 Depth=1
	s_wait_xcnt 0x0
	s_or_b32 exec_lo, exec_lo, s1
	s_wait_dscnt 0x0
	v_add_nc_u32_e32 v26, v2, v4
	s_mov_b32 s1, exec_lo
	s_delay_alu instid0(VALU_DEP_1)
	v_cmpx_lt_i32_e64 v26, v3
	s_cbranch_execz .LBB12_47
; %bb.45:                               ;   in Loop: Header=BB12_7 Depth=1
	v_ashrrev_i32_e32 v27, 31, v26
	s_mov_b32 s3, 0
	s_delay_alu instid0(VALU_DEP_1)
	v_lshlrev_b64_e32 v[28:29], 3, v[26:27]
.LBB12_46:                              ;   Parent Loop BB12_7 Depth=1
                                        ; =>  This Inner Loop Header: Depth=2
	s_delay_alu instid0(VALU_DEP_1)
	v_add_nc_u64_e32 v[30:31], s[14:15], v[28:29]
	v_add_nc_u64_e32 v[34:35], s[44:45], v[28:29]
	;; [unrolled: 1-line block ×3, first 2 shown]
	v_add_nc_u32_e32 v26, s34, v26
	global_load_b64 v[32:33], v[30:31], off
	v_cmp_ge_i32_e32 vcc_lo, v26, v3
	s_or_b32 s3, vcc_lo, s3
	s_wait_loadcnt 0x0
	v_mul_f64_e32 v[32:33], v[0:1], v[32:33]
	global_store_b64 v[30:31], v[32:33], off
	global_load_b64 v[30:31], v[34:35], off
	s_wait_loadcnt 0x0
	v_mul_f64_e32 v[30:31], v[0:1], v[30:31]
	global_store_b64 v[34:35], v[30:31], off
	s_wait_xcnt 0x0
	s_and_not1_b32 exec_lo, exec_lo, s3
	s_cbranch_execnz .LBB12_46
.LBB12_47:                              ;   in Loop: Header=BB12_7 Depth=1
	s_or_b32 exec_lo, exec_lo, s1
.LBB12_48:                              ;   in Loop: Header=BB12_7 Depth=1
	s_wait_storecnt 0x0
	s_barrier_signal -1
	s_barrier_wait -1
	ds_load_b64 v[28:29], v58 offset:32
	ds_load_b32 v26, v58 offset:16
	s_mov_b32 s6, -1
                                        ; implicit-def: $vgpr32_vgpr33
                                        ; implicit-def: $vgpr30_vgpr31
                                        ; implicit-def: $vgpr27
	s_wait_dscnt 0x1
	v_cmp_gt_i32_e64 s1, s26, v29
	s_wait_dscnt 0x0
	v_cmp_lt_i32_e32 vcc_lo, v28, v26
	s_delay_alu instid0(VALU_DEP_2) | instskip(NEXT) | instid1(VALU_DEP_1)
	v_cndmask_b32_e64 v0, 0, 1, s1
	v_cmp_ne_u32_e64 s3, 1, v0
	s_cbranch_vccnz .LBB12_51
; %bb.49:                               ;   in Loop: Header=BB12_7 Depth=1
	v_mov_b64_e32 v[32:33], v[16:17]
	v_mov_b64_e32 v[30:31], v[14:15]
	v_dual_mov_b32 v27, v5 :: v_dual_mov_b32 v41, v29
	v_dual_mov_b32 v40, v28 :: v_dual_mov_b32 v34, v26
	s_and_b32 vcc_lo, exec_lo, s3
	s_cbranch_vccz .LBB12_151
.LBB12_50:                              ;   in Loop: Header=BB12_7 Depth=1
	s_mov_b32 s6, 0
.LBB12_51:                              ;   in Loop: Header=BB12_7 Depth=1
	s_delay_alu instid0(SALU_CYCLE_1)
	s_and_not1_b32 vcc_lo, exec_lo, s6
	s_cbranch_vccz .LBB12_68
; %bb.52:                               ;   in Loop: Header=BB12_7 Depth=1
	v_mov_b64_e32 v[14:15], v[30:31]
	v_mov_b64_e32 v[16:17], v[32:33]
	v_mov_b32_e32 v5, v27
.LBB12_53:                              ;   in Loop: Header=BB12_7 Depth=1
	s_barrier_signal -1
	s_barrier_wait -1
	ds_load_b64 v[0:1], v58 offset:8
	s_wait_dscnt 0x0
	v_cmp_nlt_f64_e32 vcc_lo, s[42:43], v[0:1]
	s_cbranch_vccnz .LBB12_60
; %bb.54:                               ;   in Loop: Header=BB12_7 Depth=1
	v_div_scale_f64 v[2:3], null, v[0:1], v[0:1], s[42:43]
	s_delay_alu instid0(VALU_DEP_1) | instskip(SKIP_1) | instid1(TRANS32_DEP_1)
	v_rcp_f64_e32 v[26:27], v[2:3]
	v_nop
	v_fma_f64 v[28:29], -v[2:3], v[26:27], 1.0
	s_delay_alu instid0(VALU_DEP_1) | instskip(NEXT) | instid1(VALU_DEP_1)
	v_fmac_f64_e32 v[26:27], v[26:27], v[28:29]
	v_fma_f64 v[28:29], -v[2:3], v[26:27], 1.0
	s_delay_alu instid0(VALU_DEP_1) | instskip(SKIP_1) | instid1(VALU_DEP_1)
	v_fmac_f64_e32 v[26:27], v[26:27], v[28:29]
	v_div_scale_f64 v[28:29], vcc_lo, s[42:43], v[0:1], s[42:43]
	v_mul_f64_e32 v[30:31], v[28:29], v[26:27]
	s_delay_alu instid0(VALU_DEP_1) | instskip(NEXT) | instid1(VALU_DEP_1)
	v_fma_f64 v[2:3], -v[2:3], v[30:31], v[28:29]
	v_div_fmas_f64 v[2:3], v[2:3], v[26:27], v[30:31]
	ds_load_2addr_b32 v[26:27], v58 offset0:7 offset1:10
	v_div_fixup_f64 v[2:3], v[2:3], v[0:1], s[42:43]
	s_and_saveexec_b32 s1, s2
	s_cbranch_execz .LBB12_56
; %bb.55:                               ;   in Loop: Header=BB12_7 Depth=1
	s_wait_dscnt 0x0
	global_load_b64 v[28:29], v27, s[14:15] scale_offset
	s_wait_loadcnt 0x0
	v_mul_f64_e32 v[28:29], v[2:3], v[28:29]
	global_store_b64 v27, v[28:29], s[14:15] scale_offset
.LBB12_56:                              ;   in Loop: Header=BB12_7 Depth=1
	s_wait_xcnt 0x0
	s_or_b32 exec_lo, exec_lo, s1
	s_wait_dscnt 0x0
	v_add_nc_u32_e32 v28, v26, v4
	s_mov_b32 s1, exec_lo
	s_delay_alu instid0(VALU_DEP_1)
	v_cmpx_lt_i32_e64 v28, v27
	s_cbranch_execz .LBB12_59
; %bb.57:                               ;   in Loop: Header=BB12_7 Depth=1
	v_ashrrev_i32_e32 v29, 31, v28
	s_mov_b32 s3, 0
	s_delay_alu instid0(VALU_DEP_1)
	v_lshlrev_b64_e32 v[30:31], 3, v[28:29]
.LBB12_58:                              ;   Parent Loop BB12_7 Depth=1
                                        ; =>  This Inner Loop Header: Depth=2
	s_delay_alu instid0(VALU_DEP_1)
	v_add_nc_u64_e32 v[32:33], s[14:15], v[30:31]
	v_add_nc_u64_e32 v[36:37], s[44:45], v[30:31]
	;; [unrolled: 1-line block ×3, first 2 shown]
	v_add_nc_u32_e32 v28, s34, v28
	global_load_b64 v[34:35], v[32:33], off
	v_cmp_ge_i32_e32 vcc_lo, v28, v27
	s_or_b32 s3, vcc_lo, s3
	s_wait_loadcnt 0x0
	v_mul_f64_e32 v[34:35], v[2:3], v[34:35]
	global_store_b64 v[32:33], v[34:35], off
	global_load_b64 v[32:33], v[36:37], off
	s_wait_loadcnt 0x0
	v_mul_f64_e32 v[32:33], v[2:3], v[32:33]
	global_store_b64 v[36:37], v[32:33], off
	s_wait_xcnt 0x0
	s_and_not1_b32 exec_lo, exec_lo, s3
	s_cbranch_execnz .LBB12_58
.LBB12_59:                              ;   in Loop: Header=BB12_7 Depth=1
	s_or_b32 exec_lo, exec_lo, s1
.LBB12_60:                              ;   in Loop: Header=BB12_7 Depth=1
	v_cmp_ngt_f64_e32 vcc_lo, s[22:23], v[0:1]
	s_cbranch_vccnz .LBB12_5
; %bb.61:                               ;   in Loop: Header=BB12_7 Depth=1
	v_div_scale_f64 v[2:3], null, v[0:1], v[0:1], s[22:23]
	s_delay_alu instid0(VALU_DEP_1) | instskip(SKIP_1) | instid1(TRANS32_DEP_1)
	v_rcp_f64_e32 v[26:27], v[2:3]
	v_nop
	v_fma_f64 v[28:29], -v[2:3], v[26:27], 1.0
	s_delay_alu instid0(VALU_DEP_1) | instskip(NEXT) | instid1(VALU_DEP_1)
	v_fmac_f64_e32 v[26:27], v[26:27], v[28:29]
	v_fma_f64 v[28:29], -v[2:3], v[26:27], 1.0
	s_delay_alu instid0(VALU_DEP_1) | instskip(SKIP_1) | instid1(VALU_DEP_1)
	v_fmac_f64_e32 v[26:27], v[26:27], v[28:29]
	v_div_scale_f64 v[28:29], vcc_lo, s[22:23], v[0:1], s[22:23]
	v_mul_f64_e32 v[30:31], v[28:29], v[26:27]
	s_delay_alu instid0(VALU_DEP_1) | instskip(NEXT) | instid1(VALU_DEP_1)
	v_fma_f64 v[2:3], -v[2:3], v[30:31], v[28:29]
	v_div_fmas_f64 v[2:3], v[2:3], v[26:27], v[30:31]
	s_delay_alu instid0(VALU_DEP_1)
	v_div_fixup_f64 v[0:1], v[2:3], v[0:1], s[22:23]
	ds_load_2addr_b32 v[2:3], v58 offset0:7 offset1:10
	s_and_saveexec_b32 s1, s2
	s_cbranch_execz .LBB12_63
; %bb.62:                               ;   in Loop: Header=BB12_7 Depth=1
	s_wait_dscnt 0x0
	global_load_b64 v[26:27], v3, s[14:15] scale_offset
	s_wait_loadcnt 0x0
	v_mul_f64_e32 v[26:27], v[0:1], v[26:27]
	global_store_b64 v3, v[26:27], s[14:15] scale_offset
.LBB12_63:                              ;   in Loop: Header=BB12_7 Depth=1
	s_wait_xcnt 0x0
	s_or_b32 exec_lo, exec_lo, s1
	s_wait_dscnt 0x0
	v_add_nc_u32_e32 v26, v2, v4
	s_mov_b32 s1, exec_lo
	s_delay_alu instid0(VALU_DEP_1)
	v_cmpx_lt_i32_e64 v26, v3
	s_cbranch_execz .LBB12_4
; %bb.64:                               ;   in Loop: Header=BB12_7 Depth=1
	v_ashrrev_i32_e32 v27, 31, v26
	s_mov_b32 s3, 0
	s_delay_alu instid0(VALU_DEP_1)
	v_lshlrev_b64_e32 v[28:29], 3, v[26:27]
.LBB12_65:                              ;   Parent Loop BB12_7 Depth=1
                                        ; =>  This Inner Loop Header: Depth=2
	s_delay_alu instid0(VALU_DEP_1)
	v_add_nc_u64_e32 v[30:31], s[14:15], v[28:29]
	v_add_nc_u64_e32 v[34:35], s[44:45], v[28:29]
	;; [unrolled: 1-line block ×3, first 2 shown]
	v_add_nc_u32_e32 v26, s34, v26
	global_load_b64 v[32:33], v[30:31], off
	v_cmp_ge_i32_e32 vcc_lo, v26, v3
	s_or_b32 s3, vcc_lo, s3
	s_wait_loadcnt 0x0
	v_mul_f64_e32 v[32:33], v[0:1], v[32:33]
	global_store_b64 v[30:31], v[32:33], off
	global_load_b64 v[30:31], v[34:35], off
	s_wait_loadcnt 0x0
	v_mul_f64_e32 v[30:31], v[0:1], v[30:31]
	global_store_b64 v[34:35], v[30:31], off
	s_wait_xcnt 0x0
	s_and_not1_b32 exec_lo, exec_lo, s3
	s_cbranch_execnz .LBB12_65
	s_branch .LBB12_4
.LBB12_66:                              ;   in Loop: Header=BB12_68 Depth=2
	s_or_b32 exec_lo, exec_lo, s1
	s_wait_storecnt 0x0
	s_barrier_signal -1
	s_barrier_wait -1
	ds_load_b32 v26, v58 offset:16
.LBB12_67:                              ;   in Loop: Header=BB12_68 Depth=2
	ds_load_b64 v[28:29], v58 offset:32
	s_wait_dscnt 0x0
	v_cmp_ge_i32_e32 vcc_lo, v26, v28
	v_cmp_gt_i32_e64 s1, s26, v29
	s_and_b32 s1, vcc_lo, s1
.LBB12_68:                              ;   Parent Loop BB12_7 Depth=1
                                        ; =>  This Loop Header: Depth=2
                                        ;       Child Loop BB12_75 Depth 3
                                        ;       Child Loop BB12_95 Depth 3
	;; [unrolled: 1-line block ×3, first 2 shown]
                                        ;         Child Loop BB12_147 Depth 4
	s_delay_alu instid0(SALU_CYCLE_1)
	s_and_not1_b32 vcc_lo, exec_lo, s1
	s_cbranch_vccnz .LBB12_53
; %bb.69:                               ;   in Loop: Header=BB12_68 Depth=2
	s_and_saveexec_b32 s3, s2
	s_cbranch_execz .LBB12_142
; %bb.70:                               ;   in Loop: Header=BB12_68 Depth=2
	v_cmp_gt_i32_e32 vcc_lo, v26, v28
	s_mov_b32 s1, 0
	s_cbranch_vccnz .LBB12_72
; %bb.71:                               ;   in Loop: Header=BB12_68 Depth=2
	v_ashrrev_i32_e32 v27, 31, v26
	s_mov_b32 s6, -1
	s_delay_alu instid0(VALU_DEP_1)
	v_mov_b64_e32 v[34:35], v[26:27]
	v_mov_b32_e32 v30, v26
	s_cbranch_execz .LBB12_73
	s_branch .LBB12_78
.LBB12_72:                              ;   in Loop: Header=BB12_68 Depth=2
	s_mov_b32 s6, 0
                                        ; implicit-def: $vgpr34_vgpr35
	v_mov_b32_e32 v30, v26
.LBB12_73:                              ;   in Loop: Header=BB12_68 Depth=2
	v_dual_mov_b32 v2, v26 :: v_dual_ashrrev_i32 v27, 31, v26
	s_delay_alu instid0(VALU_DEP_1) | instskip(NEXT) | instid1(VALU_DEP_1)
	v_lshlrev_b64_e32 v[0:1], 3, v[26:27]
	v_add_nc_u64_e32 v[12:13], s[44:45], v[0:1]
	v_add_nc_u64_e32 v[0:1], s[70:71], v[0:1]
	s_branch .LBB12_75
.LBB12_74:                              ;   in Loop: Header=BB12_75 Depth=3
	v_add_nc_u32_e32 v2, -1, v59
	v_add_nc_u64_e32 v[0:1], -8, v[0:1]
	s_mov_b32 s1, 0
	s_delay_alu instid0(VALU_DEP_2)
	v_cmp_le_i32_e64 s6, v2, v28
	v_add_nc_u64_e32 v[12:13], -8, v[12:13]
	s_and_not1_b32 vcc_lo, exec_lo, s6
	s_cbranch_vccz .LBB12_77
.LBB12_75:                              ;   Parent Loop BB12_7 Depth=1
                                        ;     Parent Loop BB12_68 Depth=2
                                        ; =>    This Inner Loop Header: Depth=3
	global_load_b128 v[30:33], v[0:1], off
	global_load_b64 v[18:19], v[12:13], off offset:-8
	s_wait_loadcnt 0x1
	v_dual_mul_f64 v[30:31], v[32:33], v[30:31] :: v_dual_mov_b32 v59, v2
	s_wait_loadcnt 0x0
	v_mul_f64_e32 v[18:19], v[18:19], v[18:19]
	s_delay_alu instid0(VALU_DEP_2) | instskip(NEXT) | instid1(VALU_DEP_1)
	v_mul_f64_e64 v[30:31], v[6:7], |v[30:31]|
	v_cmp_le_f64_e64 s1, |v[18:19]|, v[30:31]
	s_and_b32 vcc_lo, exec_lo, s1
	s_cbranch_vccz .LBB12_74
; %bb.76:                               ;   in Loop: Header=BB12_68 Depth=2
	s_mov_b32 s1, -1
                                        ; implicit-def: $vgpr2
                                        ; implicit-def: $vgpr0_vgpr1
	v_add_nc_u64_e32 v[12:13], -8, v[12:13]
.LBB12_77:                              ;   in Loop: Header=BB12_68 Depth=2
	v_mov_b64_e32 v[18:19], v[26:27]
	v_mov_b64_e32 v[34:35], v[26:27]
	v_mov_b32_e32 v30, v28
	s_xor_b32 s6, s1, -1
	s_mov_b32 s1, -1
.LBB12_78:                              ;   in Loop: Header=BB12_68 Depth=2
	s_and_b32 vcc_lo, exec_lo, s6
	s_cbranch_vccnz .LBB12_107
; %bb.79:                               ;   in Loop: Header=BB12_68 Depth=2
	s_and_not1_b32 vcc_lo, exec_lo, s1
	s_cbranch_vccnz .LBB12_81
.LBB12_80:                              ;   in Loop: Header=BB12_68 Depth=2
	v_mov_b64_e32 v[34:35], v[18:19]
	v_mov_b32_e32 v30, v59
	ds_store_2addr_b32 v58, v59, v26 offset0:5 offset1:7
	global_store_b64 v[12:13], v[8:9], off
.LBB12_81:                              ;   in Loop: Header=BB12_68 Depth=2
	v_lshl_add_u64 v[32:33], v[34:35], 3, s[14:15]
	v_add_nc_u32_e32 v0, -1, v26
	s_mov_b32 s1, exec_lo
	global_load_b64 v[38:39], v[32:33], off
	s_wait_loadcnt 0x0
	ds_store_b64 v58, v[38:39]
	s_wait_xcnt 0x0
	v_cmpx_ne_u32_e64 v30, v26
	s_xor_b32 s6, exec_lo, s1
	s_cbranch_execz .LBB12_139
; %bb.82:                               ;   in Loop: Header=BB12_68 Depth=2
	s_mov_b32 s1, exec_lo
	v_cmpx_ne_u32_e64 v30, v0
	s_xor_b32 s1, exec_lo, s1
	s_cbranch_execz .LBB12_111
; %bb.83:                               ;   in Loop: Header=BB12_68 Depth=2
	v_lshl_add_u64 v[0:1], v[34:35], 3, s[44:45]
	s_mov_b32 s27, exec_lo
	global_load_b64 v[2:3], v[32:33], off offset:-8
	global_load_b64 v[34:35], v[0:1], off offset:-8
	global_load_b64 v[36:37], v30, s[14:15] scale_offset
	s_wait_loadcnt 0x2
	v_add_f64_e64 v[2:3], v[2:3], -v[38:39]
	s_wait_loadcnt 0x1
	v_add_f64_e32 v[40:41], v[34:35], v[34:35]
	s_delay_alu instid0(VALU_DEP_1) | instskip(SKIP_1) | instid1(VALU_DEP_2)
	v_div_scale_f64 v[42:43], null, v[40:41], v[40:41], v[2:3]
	v_div_scale_f64 v[48:49], vcc_lo, v[2:3], v[40:41], v[2:3]
	v_rcp_f64_e32 v[44:45], v[42:43]
	v_nop
	s_delay_alu instid0(TRANS32_DEP_1) | instskip(NEXT) | instid1(VALU_DEP_1)
	v_fma_f64 v[46:47], -v[42:43], v[44:45], 1.0
	v_fmac_f64_e32 v[44:45], v[44:45], v[46:47]
	s_delay_alu instid0(VALU_DEP_1) | instskip(NEXT) | instid1(VALU_DEP_1)
	v_fma_f64 v[46:47], -v[42:43], v[44:45], 1.0
	v_fmac_f64_e32 v[44:45], v[44:45], v[46:47]
	s_delay_alu instid0(VALU_DEP_1) | instskip(NEXT) | instid1(VALU_DEP_1)
	v_mul_f64_e32 v[46:47], v[48:49], v[44:45]
	v_fma_f64 v[42:43], -v[42:43], v[46:47], v[48:49]
	s_delay_alu instid0(VALU_DEP_1) | instskip(NEXT) | instid1(VALU_DEP_1)
	v_div_fmas_f64 v[42:43], v[42:43], v[44:45], v[46:47]
	v_div_fixup_f64 v[2:3], v[42:43], v[40:41], v[2:3]
	s_delay_alu instid0(VALU_DEP_1) | instskip(NEXT) | instid1(VALU_DEP_1)
	v_fma_f64 v[40:41], v[2:3], v[2:3], 1.0
	v_cmp_gt_f64_e32 vcc_lo, 0x10000000, v[40:41]
	v_cndmask_b32_e64 v27, 0, 0x100, vcc_lo
	s_delay_alu instid0(VALU_DEP_1) | instskip(SKIP_1) | instid1(VALU_DEP_2)
	v_ldexp_f64 v[40:41], v[40:41], v27
	v_cndmask_b32_e64 v27, 0, 0xffffff80, vcc_lo
	v_rsq_f64_e32 v[42:43], v[40:41]
	v_cmp_class_f64_e64 vcc_lo, v[40:41], 0x260
	s_delay_alu instid0(TRANS32_DEP_1) | instskip(SKIP_1) | instid1(VALU_DEP_1)
	v_mul_f64_e32 v[44:45], v[40:41], v[42:43]
	v_mul_f64_e32 v[42:43], 0.5, v[42:43]
	v_fma_f64 v[46:47], -v[42:43], v[44:45], 0.5
	s_delay_alu instid0(VALU_DEP_1) | instskip(SKIP_1) | instid1(VALU_DEP_2)
	v_fmac_f64_e32 v[44:45], v[44:45], v[46:47]
	v_fmac_f64_e32 v[42:43], v[42:43], v[46:47]
	v_fma_f64 v[46:47], -v[44:45], v[44:45], v[40:41]
	s_delay_alu instid0(VALU_DEP_1) | instskip(NEXT) | instid1(VALU_DEP_1)
	v_fmac_f64_e32 v[44:45], v[46:47], v[42:43]
	v_fma_f64 v[46:47], -v[44:45], v[44:45], v[40:41]
	s_delay_alu instid0(VALU_DEP_1) | instskip(NEXT) | instid1(VALU_DEP_1)
	v_fmac_f64_e32 v[44:45], v[46:47], v[42:43]
	v_ldexp_f64 v[42:43], v[44:45], v27
	s_delay_alu instid0(VALU_DEP_1) | instskip(NEXT) | instid1(VALU_DEP_1)
	v_cndmask_b32_e32 v27, v43, v41, vcc_lo
	v_and_b32_e32 v28, 0x7fffffff, v27
	v_or_b32_e32 v27, 0x80000000, v27
	s_delay_alu instid0(VALU_DEP_4) | instskip(SKIP_1) | instid1(VALU_DEP_3)
	v_cndmask_b32_e32 v40, v42, v40, vcc_lo
	v_cmp_nle_f64_e32 vcc_lo, 0, v[2:3]
	v_dual_cndmask_b32 v41, v28, v27, vcc_lo :: v_dual_add_nc_u32 v27, 1, v29
	ds_store_b32 v58, v27 offset:36
	ds_store_b64 v58, v[8:9]
	v_add_f64_e32 v[2:3], v[2:3], v[40:41]
	s_delay_alu instid0(VALU_DEP_1) | instskip(NEXT) | instid1(VALU_DEP_1)
	v_div_scale_f64 v[40:41], null, v[2:3], v[2:3], v[34:35]
	v_rcp_f64_e32 v[42:43], v[40:41]
	v_nop
	s_delay_alu instid0(TRANS32_DEP_1) | instskip(NEXT) | instid1(VALU_DEP_1)
	v_fma_f64 v[44:45], -v[40:41], v[42:43], 1.0
	v_fmac_f64_e32 v[42:43], v[42:43], v[44:45]
	s_delay_alu instid0(VALU_DEP_1) | instskip(NEXT) | instid1(VALU_DEP_1)
	v_fma_f64 v[44:45], -v[40:41], v[42:43], 1.0
	v_fmac_f64_e32 v[42:43], v[42:43], v[44:45]
	v_div_scale_f64 v[44:45], vcc_lo, v[34:35], v[2:3], v[34:35]
	s_delay_alu instid0(VALU_DEP_1) | instskip(NEXT) | instid1(VALU_DEP_1)
	v_mul_f64_e32 v[46:47], v[44:45], v[42:43]
	v_fma_f64 v[40:41], -v[40:41], v[46:47], v[44:45]
	s_delay_alu instid0(VALU_DEP_1) | instskip(SKIP_2) | instid1(VALU_DEP_2)
	v_div_fmas_f64 v[40:41], v[40:41], v[42:43], v[46:47]
	s_wait_loadcnt 0x0
	v_add_f64_e64 v[42:43], v[36:37], -v[38:39]
	v_div_fixup_f64 v[2:3], v[40:41], v[2:3], v[34:35]
	v_mov_b64_e32 v[34:35], 0
	s_delay_alu instid0(VALU_DEP_2)
	v_add_f64_e32 v[2:3], v[42:43], v[2:3]
	s_wait_xcnt 0x0
	v_cmpx_lt_i32_e64 v30, v26
	s_cbranch_execz .LBB12_110
; %bb.84:                               ;   in Loop: Header=BB12_68 Depth=2
	v_ashrrev_i32_e32 v31, 31, v30
	v_mov_b64_e32 v[40:41], 0
	s_mov_b32 s33, exec_lo
	s_delay_alu instid0(VALU_DEP_2)
	v_lshl_add_u64 v[28:29], v[30:31], 3, s[44:45]
	global_load_b64 v[38:39], v[28:29], off
	s_wait_xcnt 0x0
	v_mov_b64_e32 v[28:29], 1.0
	s_wait_loadcnt 0x0
	v_cmpx_neq_f64_e32 0, v[38:39]
	s_cbranch_execz .LBB12_92
; %bb.85:                               ;   in Loop: Header=BB12_68 Depth=2
	v_mov_b64_e32 v[28:29], 0
	v_mov_b64_e32 v[40:41], 1.0
	s_mov_b32 s35, exec_lo
	v_cmpx_neq_f64_e32 0, v[2:3]
	s_cbranch_execz .LBB12_91
; %bb.86:                               ;   in Loop: Header=BB12_68 Depth=2
	v_cmp_ngt_f64_e64 s37, |v[38:39]|, |v[2:3]|
                                        ; implicit-def: $vgpr40_vgpr41
                                        ; implicit-def: $vgpr28_vgpr29
	s_and_saveexec_b32 s72, s37
	s_delay_alu instid0(SALU_CYCLE_1)
	s_xor_b32 s37, exec_lo, s72
	s_cbranch_execz .LBB12_88
; %bb.87:                               ;   in Loop: Header=BB12_68 Depth=2
	v_div_scale_f64 v[28:29], null, v[2:3], v[2:3], -v[38:39]
	v_div_scale_f64 v[42:43], vcc_lo, -v[38:39], v[2:3], -v[38:39]
	s_delay_alu instid0(VALU_DEP_2) | instskip(SKIP_1) | instid1(TRANS32_DEP_1)
	v_rcp_f64_e32 v[34:35], v[28:29]
	v_nop
	v_fma_f64 v[40:41], -v[28:29], v[34:35], 1.0
	s_delay_alu instid0(VALU_DEP_1) | instskip(NEXT) | instid1(VALU_DEP_1)
	v_fmac_f64_e32 v[34:35], v[34:35], v[40:41]
	v_fma_f64 v[40:41], -v[28:29], v[34:35], 1.0
	s_delay_alu instid0(VALU_DEP_1) | instskip(NEXT) | instid1(VALU_DEP_1)
	v_fmac_f64_e32 v[34:35], v[34:35], v[40:41]
	v_mul_f64_e32 v[40:41], v[42:43], v[34:35]
	s_delay_alu instid0(VALU_DEP_1) | instskip(NEXT) | instid1(VALU_DEP_1)
	v_fma_f64 v[28:29], -v[28:29], v[40:41], v[42:43]
	v_div_fmas_f64 v[28:29], v[28:29], v[34:35], v[40:41]
	s_delay_alu instid0(VALU_DEP_1) | instskip(NEXT) | instid1(VALU_DEP_1)
	v_div_fixup_f64 v[2:3], v[28:29], v[2:3], -v[38:39]
	v_fma_f64 v[28:29], v[2:3], v[2:3], 1.0
	s_delay_alu instid0(VALU_DEP_1) | instskip(SKIP_1) | instid1(VALU_DEP_1)
	v_cmp_gt_f64_e32 vcc_lo, 0x10000000, v[28:29]
	v_cndmask_b32_e64 v27, 0, 0x100, vcc_lo
	v_ldexp_f64 v[28:29], v[28:29], v27
	v_cndmask_b32_e64 v27, 0, 0xffffff80, vcc_lo
	s_delay_alu instid0(VALU_DEP_2) | instskip(SKIP_1) | instid1(TRANS32_DEP_1)
	v_rsq_f64_e32 v[34:35], v[28:29]
	v_cmp_class_f64_e64 vcc_lo, v[28:29], 0x260
	v_mul_f64_e32 v[40:41], v[28:29], v[34:35]
	v_mul_f64_e32 v[34:35], 0.5, v[34:35]
	s_delay_alu instid0(VALU_DEP_1) | instskip(NEXT) | instid1(VALU_DEP_1)
	v_fma_f64 v[42:43], -v[34:35], v[40:41], 0.5
	v_fmac_f64_e32 v[40:41], v[40:41], v[42:43]
	v_fmac_f64_e32 v[34:35], v[34:35], v[42:43]
	s_delay_alu instid0(VALU_DEP_2) | instskip(NEXT) | instid1(VALU_DEP_1)
	v_fma_f64 v[42:43], -v[40:41], v[40:41], v[28:29]
	v_fmac_f64_e32 v[40:41], v[42:43], v[34:35]
	s_delay_alu instid0(VALU_DEP_1) | instskip(NEXT) | instid1(VALU_DEP_1)
	v_fma_f64 v[42:43], -v[40:41], v[40:41], v[28:29]
	v_fmac_f64_e32 v[40:41], v[42:43], v[34:35]
	s_delay_alu instid0(VALU_DEP_1) | instskip(NEXT) | instid1(VALU_DEP_1)
	v_ldexp_f64 v[34:35], v[40:41], v27
	v_dual_cndmask_b32 v29, v35, v29 :: v_dual_cndmask_b32 v28, v34, v28
	s_delay_alu instid0(VALU_DEP_1) | instskip(NEXT) | instid1(VALU_DEP_1)
	v_div_scale_f64 v[34:35], null, v[28:29], v[28:29], 1.0
	v_rcp_f64_e32 v[40:41], v[34:35]
	v_nop
	s_delay_alu instid0(TRANS32_DEP_1) | instskip(NEXT) | instid1(VALU_DEP_1)
	v_fma_f64 v[42:43], -v[34:35], v[40:41], 1.0
	v_fmac_f64_e32 v[40:41], v[40:41], v[42:43]
	s_delay_alu instid0(VALU_DEP_1) | instskip(NEXT) | instid1(VALU_DEP_1)
	v_fma_f64 v[42:43], -v[34:35], v[40:41], 1.0
	v_fmac_f64_e32 v[40:41], v[40:41], v[42:43]
	v_div_scale_f64 v[42:43], vcc_lo, 1.0, v[28:29], 1.0
	s_delay_alu instid0(VALU_DEP_1) | instskip(NEXT) | instid1(VALU_DEP_1)
	v_mul_f64_e32 v[44:45], v[42:43], v[40:41]
	v_fma_f64 v[34:35], -v[34:35], v[44:45], v[42:43]
	s_delay_alu instid0(VALU_DEP_1) | instskip(NEXT) | instid1(VALU_DEP_1)
	v_div_fmas_f64 v[34:35], v[34:35], v[40:41], v[44:45]
	v_div_fixup_f64 v[28:29], v[34:35], v[28:29], 1.0
	s_delay_alu instid0(VALU_DEP_1)
	v_mul_f64_e32 v[40:41], v[2:3], v[28:29]
                                        ; implicit-def: $vgpr2_vgpr3
.LBB12_88:                              ;   in Loop: Header=BB12_68 Depth=2
	s_and_not1_saveexec_b32 s37, s37
	s_cbranch_execz .LBB12_90
; %bb.89:                               ;   in Loop: Header=BB12_68 Depth=2
	v_div_scale_f64 v[28:29], null, v[38:39], v[38:39], -v[2:3]
	v_div_scale_f64 v[42:43], vcc_lo, -v[2:3], v[38:39], -v[2:3]
	s_delay_alu instid0(VALU_DEP_2) | instskip(SKIP_1) | instid1(TRANS32_DEP_1)
	v_rcp_f64_e32 v[34:35], v[28:29]
	v_nop
	v_fma_f64 v[40:41], -v[28:29], v[34:35], 1.0
	s_delay_alu instid0(VALU_DEP_1) | instskip(NEXT) | instid1(VALU_DEP_1)
	v_fmac_f64_e32 v[34:35], v[34:35], v[40:41]
	v_fma_f64 v[40:41], -v[28:29], v[34:35], 1.0
	s_delay_alu instid0(VALU_DEP_1) | instskip(NEXT) | instid1(VALU_DEP_1)
	v_fmac_f64_e32 v[34:35], v[34:35], v[40:41]
	v_mul_f64_e32 v[40:41], v[42:43], v[34:35]
	s_delay_alu instid0(VALU_DEP_1) | instskip(NEXT) | instid1(VALU_DEP_1)
	v_fma_f64 v[28:29], -v[28:29], v[40:41], v[42:43]
	v_div_fmas_f64 v[28:29], v[28:29], v[34:35], v[40:41]
	s_delay_alu instid0(VALU_DEP_1) | instskip(NEXT) | instid1(VALU_DEP_1)
	v_div_fixup_f64 v[2:3], v[28:29], v[38:39], -v[2:3]
	v_fma_f64 v[28:29], v[2:3], v[2:3], 1.0
	s_delay_alu instid0(VALU_DEP_1) | instskip(SKIP_1) | instid1(VALU_DEP_1)
	v_cmp_gt_f64_e32 vcc_lo, 0x10000000, v[28:29]
	v_cndmask_b32_e64 v27, 0, 0x100, vcc_lo
	v_ldexp_f64 v[28:29], v[28:29], v27
	v_cndmask_b32_e64 v27, 0, 0xffffff80, vcc_lo
	s_delay_alu instid0(VALU_DEP_2) | instskip(SKIP_1) | instid1(TRANS32_DEP_1)
	v_rsq_f64_e32 v[34:35], v[28:29]
	v_cmp_class_f64_e64 vcc_lo, v[28:29], 0x260
	v_mul_f64_e32 v[40:41], v[28:29], v[34:35]
	v_mul_f64_e32 v[34:35], 0.5, v[34:35]
	s_delay_alu instid0(VALU_DEP_1) | instskip(NEXT) | instid1(VALU_DEP_1)
	v_fma_f64 v[42:43], -v[34:35], v[40:41], 0.5
	v_fmac_f64_e32 v[40:41], v[40:41], v[42:43]
	v_fmac_f64_e32 v[34:35], v[34:35], v[42:43]
	s_delay_alu instid0(VALU_DEP_2) | instskip(NEXT) | instid1(VALU_DEP_1)
	v_fma_f64 v[42:43], -v[40:41], v[40:41], v[28:29]
	v_fmac_f64_e32 v[40:41], v[42:43], v[34:35]
	s_delay_alu instid0(VALU_DEP_1) | instskip(NEXT) | instid1(VALU_DEP_1)
	v_fma_f64 v[42:43], -v[40:41], v[40:41], v[28:29]
	v_fmac_f64_e32 v[40:41], v[42:43], v[34:35]
	s_delay_alu instid0(VALU_DEP_1) | instskip(NEXT) | instid1(VALU_DEP_1)
	v_ldexp_f64 v[34:35], v[40:41], v27
	v_dual_cndmask_b32 v29, v35, v29 :: v_dual_cndmask_b32 v28, v34, v28
	s_delay_alu instid0(VALU_DEP_1) | instskip(NEXT) | instid1(VALU_DEP_1)
	v_div_scale_f64 v[34:35], null, v[28:29], v[28:29], 1.0
	v_rcp_f64_e32 v[40:41], v[34:35]
	v_nop
	s_delay_alu instid0(TRANS32_DEP_1) | instskip(NEXT) | instid1(VALU_DEP_1)
	v_fma_f64 v[42:43], -v[34:35], v[40:41], 1.0
	v_fmac_f64_e32 v[40:41], v[40:41], v[42:43]
	s_delay_alu instid0(VALU_DEP_1) | instskip(NEXT) | instid1(VALU_DEP_1)
	v_fma_f64 v[42:43], -v[34:35], v[40:41], 1.0
	v_fmac_f64_e32 v[40:41], v[40:41], v[42:43]
	v_div_scale_f64 v[42:43], vcc_lo, 1.0, v[28:29], 1.0
	s_delay_alu instid0(VALU_DEP_1) | instskip(NEXT) | instid1(VALU_DEP_1)
	v_mul_f64_e32 v[44:45], v[42:43], v[40:41]
	v_fma_f64 v[34:35], -v[34:35], v[44:45], v[42:43]
	s_delay_alu instid0(VALU_DEP_1) | instskip(NEXT) | instid1(VALU_DEP_1)
	v_div_fmas_f64 v[34:35], v[34:35], v[40:41], v[44:45]
	v_div_fixup_f64 v[40:41], v[34:35], v[28:29], 1.0
	s_delay_alu instid0(VALU_DEP_1)
	v_mul_f64_e32 v[28:29], v[2:3], v[40:41]
.LBB12_90:                              ;   in Loop: Header=BB12_68 Depth=2
	s_or_b32 exec_lo, exec_lo, s37
.LBB12_91:                              ;   in Loop: Header=BB12_68 Depth=2
	s_delay_alu instid0(SALU_CYCLE_1)
	s_or_b32 exec_lo, exec_lo, s35
.LBB12_92:                              ;   in Loop: Header=BB12_68 Depth=2
	s_delay_alu instid0(SALU_CYCLE_1) | instskip(SKIP_1) | instid1(VALU_DEP_2)
	s_or_b32 exec_lo, exec_lo, s33
	v_lshl_add_u64 v[42:43], v[30:31], 3, s[14:15]
	v_add_f64_e32 v[34:35], v[28:29], v[28:29]
	s_delay_alu instid0(VALU_DEP_3) | instskip(SKIP_1) | instid1(VALU_DEP_4)
	v_xor_b32_e32 v49, 0x80000000, v41
	s_mov_b32 s33, exec_lo
	v_mov_b32_e32 v48, v40
	global_load_b64 v[2:3], v[42:43], off offset:8
	s_wait_loadcnt 0x0
	v_add_f64_e64 v[2:3], v[2:3], -v[36:37]
	s_delay_alu instid0(VALU_DEP_1) | instskip(NEXT) | instid1(VALU_DEP_1)
	v_mul_f64_e32 v[2:3], v[40:41], v[2:3]
	v_fma_f64 v[2:3], v[38:39], v[34:35], -v[2:3]
	s_delay_alu instid0(VALU_DEP_1) | instskip(SKIP_4) | instid1(VALU_DEP_2)
	v_mul_f64_e64 v[34:35], v[2:3], -v[40:41]
	v_fma_f64 v[44:45], v[2:3], -v[40:41], v[36:37]
	v_fma_f64 v[2:3], v[28:29], v[2:3], -v[38:39]
	v_lshl_add_u64 v[38:39], v[30:31], 3, s[48:49]
	v_add_nc_u32_e32 v36, 1, v30
	v_lshl_add_u64 v[40:41], s[28:29], 3, v[38:39]
	ds_store_b64 v58, v[34:35]
	global_store_b64 v[42:43], v[44:45], off
	s_clause 0x1
	global_store_b64 v[38:39], v[28:29], off
	global_store_b64 v[40:41], v[48:49], off offset:-8
	s_wait_xcnt 0x0
	v_cmpx_lt_i32_e64 v36, v26
	s_cbranch_execz .LBB12_109
; %bb.93:                               ;   in Loop: Header=BB12_68 Depth=2
	v_ashrrev_i32_e32 v37, 31, v36
	s_mov_b32 s37, 1
	s_mov_b32 s35, 0
	s_delay_alu instid0(VALU_DEP_1) | instskip(NEXT) | instid1(VALU_DEP_1)
	v_lshlrev_b64_e32 v[40:41], 3, v[36:37]
	v_add_nc_u64_e32 v[36:37], s[48:49], v[40:41]
	v_add_nc_u64_e32 v[38:39], s[60:61], v[40:41]
	;; [unrolled: 1-line block ×3, first 2 shown]
	s_branch .LBB12_95
.LBB12_94:                              ;   in Loop: Header=BB12_95 Depth=3
	global_load_b128 v[50:53], v[40:41], off
	v_mul_f64_e32 v[28:29], v[28:29], v[42:43]
	v_add_f64_e32 v[42:43], v[46:47], v[46:47]
	s_add_co_i32 s37, s37, 1
	s_wait_xcnt 0x1
	v_add_nc_u64_e32 v[38:39], 8, v[38:39]
	v_add_nc_u32_e32 v27, s37, v30
	s_delay_alu instid0(VALU_DEP_1) | instskip(SKIP_3) | instid1(VALU_DEP_1)
	v_cmp_ge_i32_e32 vcc_lo, v27, v26
	s_or_b32 s35, vcc_lo, s35
	s_wait_loadcnt 0x0
	v_add_f64_e64 v[2:3], v[50:51], -v[34:35]
	v_add_f64_e64 v[34:35], v[52:53], -v[2:3]
	s_delay_alu instid0(VALU_DEP_1) | instskip(NEXT) | instid1(VALU_DEP_1)
	v_mul_f64_e32 v[34:35], v[48:49], v[34:35]
	v_fma_f64 v[42:43], v[28:29], v[42:43], -v[34:35]
	s_delay_alu instid0(VALU_DEP_1)
	v_fma_f64 v[44:45], v[42:43], -v[48:49], v[2:3]
	v_mul_f64_e64 v[34:35], v[42:43], -v[48:49]
	v_fma_f64 v[2:3], v[46:47], v[42:43], -v[28:29]
	v_add_nc_u64_e32 v[28:29], 8, v[40:41]
	v_add_nc_u64_e32 v[42:43], s[62:63], v[36:37]
	v_xor_b32_e32 v49, 0x80000000, v49
	global_store_b64 v[40:41], v[44:45], off
	global_store_b64 v[36:37], v[46:47], off
	s_wait_xcnt 0x0
	v_add_nc_u64_e32 v[36:37], 8, v[36:37]
	v_mov_b64_e32 v[40:41], v[28:29]
	v_mov_b64_e32 v[28:29], v[46:47]
	global_store_b64 v[42:43], v[48:49], off
	s_wait_xcnt 0x0
	s_and_not1_b32 exec_lo, exec_lo, s35
	s_cbranch_execz .LBB12_108
.LBB12_95:                              ;   Parent Loop BB12_7 Depth=1
                                        ;     Parent Loop BB12_68 Depth=2
                                        ; =>    This Inner Loop Header: Depth=3
	global_load_b64 v[42:43], v[38:39], off offset:8
	v_mov_b64_e32 v[46:47], 1.0
	s_mov_b32 s72, exec_lo
	s_wait_loadcnt 0x0
	v_mul_f64_e32 v[44:45], v[48:49], v[42:43]
	v_mov_b64_e32 v[48:49], 0
	s_wait_xcnt 0x0
	s_delay_alu instid0(VALU_DEP_2)
	v_cmpx_neq_f64_e32 0, v[44:45]
	s_cbranch_execz .LBB12_105
; %bb.96:                               ;   in Loop: Header=BB12_95 Depth=3
	v_xor_b32_e32 v51, 0x80000000, v45
	v_mov_b32_e32 v50, v44
	s_mov_b32 s74, exec_lo
                                        ; implicit-def: $vgpr48_vgpr49
                                        ; implicit-def: $vgpr46_vgpr47
	v_cmpx_neq_f64_e32 0, v[2:3]
	s_xor_b32 s74, exec_lo, s74
	s_cbranch_execz .LBB12_102
; %bb.97:                               ;   in Loop: Header=BB12_95 Depth=3
	v_cmp_ngt_f64_e64 s75, |v[44:45]|, |v[2:3]|
                                        ; implicit-def: $vgpr48_vgpr49
                                        ; implicit-def: $vgpr46_vgpr47
	s_and_saveexec_b32 s76, s75
	s_delay_alu instid0(SALU_CYCLE_1)
	s_xor_b32 s75, exec_lo, s76
	s_cbranch_execz .LBB12_99
; %bb.98:                               ;   in Loop: Header=BB12_95 Depth=3
	v_div_scale_f64 v[46:47], null, v[2:3], v[2:3], -v[44:45]
	v_div_scale_f64 v[52:53], vcc_lo, -v[44:45], v[2:3], -v[44:45]
	s_delay_alu instid0(VALU_DEP_2) | instskip(SKIP_1) | instid1(TRANS32_DEP_1)
	v_rcp_f64_e32 v[48:49], v[46:47]
	v_nop
	v_fma_f64 v[50:51], -v[46:47], v[48:49], 1.0
	s_delay_alu instid0(VALU_DEP_1) | instskip(NEXT) | instid1(VALU_DEP_1)
	v_fmac_f64_e32 v[48:49], v[48:49], v[50:51]
	v_fma_f64 v[50:51], -v[46:47], v[48:49], 1.0
	s_delay_alu instid0(VALU_DEP_1) | instskip(NEXT) | instid1(VALU_DEP_1)
	v_fmac_f64_e32 v[48:49], v[48:49], v[50:51]
	v_mul_f64_e32 v[50:51], v[52:53], v[48:49]
	s_delay_alu instid0(VALU_DEP_1) | instskip(NEXT) | instid1(VALU_DEP_1)
	v_fma_f64 v[46:47], -v[46:47], v[50:51], v[52:53]
	v_div_fmas_f64 v[46:47], v[46:47], v[48:49], v[50:51]
	s_delay_alu instid0(VALU_DEP_1) | instskip(NEXT) | instid1(VALU_DEP_1)
	v_div_fixup_f64 v[48:49], v[46:47], v[2:3], -v[44:45]
	v_fma_f64 v[46:47], v[48:49], v[48:49], 1.0
	s_delay_alu instid0(VALU_DEP_1) | instskip(SKIP_1) | instid1(VALU_DEP_1)
	v_cmp_gt_f64_e32 vcc_lo, 0x10000000, v[46:47]
	v_cndmask_b32_e64 v27, 0, 0x100, vcc_lo
	v_ldexp_f64 v[46:47], v[46:47], v27
	v_cndmask_b32_e64 v27, 0, 0xffffff80, vcc_lo
	s_delay_alu instid0(VALU_DEP_2) | instskip(SKIP_1) | instid1(TRANS32_DEP_1)
	v_rsq_f64_e32 v[50:51], v[46:47]
	v_cmp_class_f64_e64 vcc_lo, v[46:47], 0x260
	v_mul_f64_e32 v[52:53], v[46:47], v[50:51]
	v_mul_f64_e32 v[50:51], 0.5, v[50:51]
	s_delay_alu instid0(VALU_DEP_1) | instskip(NEXT) | instid1(VALU_DEP_1)
	v_fma_f64 v[54:55], -v[50:51], v[52:53], 0.5
	v_fmac_f64_e32 v[52:53], v[52:53], v[54:55]
	v_fmac_f64_e32 v[50:51], v[50:51], v[54:55]
	s_delay_alu instid0(VALU_DEP_2) | instskip(NEXT) | instid1(VALU_DEP_1)
	v_fma_f64 v[54:55], -v[52:53], v[52:53], v[46:47]
	v_fmac_f64_e32 v[52:53], v[54:55], v[50:51]
	s_delay_alu instid0(VALU_DEP_1) | instskip(NEXT) | instid1(VALU_DEP_1)
	v_fma_f64 v[54:55], -v[52:53], v[52:53], v[46:47]
	v_fmac_f64_e32 v[52:53], v[54:55], v[50:51]
	s_delay_alu instid0(VALU_DEP_1) | instskip(NEXT) | instid1(VALU_DEP_1)
	v_ldexp_f64 v[50:51], v[52:53], v27
	v_dual_cndmask_b32 v47, v51, v47 :: v_dual_cndmask_b32 v46, v50, v46
	s_delay_alu instid0(VALU_DEP_1) | instskip(NEXT) | instid1(VALU_DEP_1)
	v_div_scale_f64 v[50:51], null, v[46:47], v[46:47], 1.0
	v_rcp_f64_e32 v[52:53], v[50:51]
	v_nop
	s_delay_alu instid0(TRANS32_DEP_1) | instskip(NEXT) | instid1(VALU_DEP_1)
	v_fma_f64 v[54:55], -v[50:51], v[52:53], 1.0
	v_fmac_f64_e32 v[52:53], v[52:53], v[54:55]
	s_delay_alu instid0(VALU_DEP_1) | instskip(NEXT) | instid1(VALU_DEP_1)
	v_fma_f64 v[54:55], -v[50:51], v[52:53], 1.0
	v_fmac_f64_e32 v[52:53], v[52:53], v[54:55]
	v_div_scale_f64 v[54:55], vcc_lo, 1.0, v[46:47], 1.0
	s_delay_alu instid0(VALU_DEP_1) | instskip(NEXT) | instid1(VALU_DEP_1)
	v_mul_f64_e32 v[56:57], v[54:55], v[52:53]
	v_fma_f64 v[50:51], -v[50:51], v[56:57], v[54:55]
	s_delay_alu instid0(VALU_DEP_1) | instskip(NEXT) | instid1(VALU_DEP_1)
	v_div_fmas_f64 v[50:51], v[50:51], v[52:53], v[56:57]
	v_div_fixup_f64 v[46:47], v[50:51], v[46:47], 1.0
	s_delay_alu instid0(VALU_DEP_1)
	v_mul_f64_e32 v[48:49], v[48:49], v[46:47]
.LBB12_99:                              ;   in Loop: Header=BB12_95 Depth=3
	s_and_not1_saveexec_b32 s75, s75
	s_cbranch_execz .LBB12_101
; %bb.100:                              ;   in Loop: Header=BB12_95 Depth=3
	v_div_scale_f64 v[46:47], null, v[44:45], v[44:45], -v[2:3]
	v_div_scale_f64 v[52:53], vcc_lo, -v[2:3], v[44:45], -v[2:3]
	s_delay_alu instid0(VALU_DEP_2) | instskip(SKIP_1) | instid1(TRANS32_DEP_1)
	v_rcp_f64_e32 v[48:49], v[46:47]
	v_nop
	v_fma_f64 v[50:51], -v[46:47], v[48:49], 1.0
	s_delay_alu instid0(VALU_DEP_1) | instskip(NEXT) | instid1(VALU_DEP_1)
	v_fmac_f64_e32 v[48:49], v[48:49], v[50:51]
	v_fma_f64 v[50:51], -v[46:47], v[48:49], 1.0
	s_delay_alu instid0(VALU_DEP_1) | instskip(NEXT) | instid1(VALU_DEP_1)
	v_fmac_f64_e32 v[48:49], v[48:49], v[50:51]
	v_mul_f64_e32 v[50:51], v[52:53], v[48:49]
	s_delay_alu instid0(VALU_DEP_1) | instskip(NEXT) | instid1(VALU_DEP_1)
	v_fma_f64 v[46:47], -v[46:47], v[50:51], v[52:53]
	v_div_fmas_f64 v[46:47], v[46:47], v[48:49], v[50:51]
	s_delay_alu instid0(VALU_DEP_1) | instskip(NEXT) | instid1(VALU_DEP_1)
	v_div_fixup_f64 v[46:47], v[46:47], v[44:45], -v[2:3]
	v_fma_f64 v[48:49], v[46:47], v[46:47], 1.0
	s_delay_alu instid0(VALU_DEP_1) | instskip(SKIP_1) | instid1(VALU_DEP_1)
	v_cmp_gt_f64_e32 vcc_lo, 0x10000000, v[48:49]
	v_cndmask_b32_e64 v27, 0, 0x100, vcc_lo
	v_ldexp_f64 v[48:49], v[48:49], v27
	v_cndmask_b32_e64 v27, 0, 0xffffff80, vcc_lo
	s_delay_alu instid0(VALU_DEP_2) | instskip(SKIP_1) | instid1(TRANS32_DEP_1)
	v_rsq_f64_e32 v[50:51], v[48:49]
	v_cmp_class_f64_e64 vcc_lo, v[48:49], 0x260
	v_mul_f64_e32 v[52:53], v[48:49], v[50:51]
	v_mul_f64_e32 v[50:51], 0.5, v[50:51]
	s_delay_alu instid0(VALU_DEP_1) | instskip(NEXT) | instid1(VALU_DEP_1)
	v_fma_f64 v[54:55], -v[50:51], v[52:53], 0.5
	v_fmac_f64_e32 v[52:53], v[52:53], v[54:55]
	v_fmac_f64_e32 v[50:51], v[50:51], v[54:55]
	s_delay_alu instid0(VALU_DEP_2) | instskip(NEXT) | instid1(VALU_DEP_1)
	v_fma_f64 v[54:55], -v[52:53], v[52:53], v[48:49]
	v_fmac_f64_e32 v[52:53], v[54:55], v[50:51]
	s_delay_alu instid0(VALU_DEP_1) | instskip(NEXT) | instid1(VALU_DEP_1)
	v_fma_f64 v[54:55], -v[52:53], v[52:53], v[48:49]
	v_fmac_f64_e32 v[52:53], v[54:55], v[50:51]
	s_delay_alu instid0(VALU_DEP_1) | instskip(NEXT) | instid1(VALU_DEP_1)
	v_ldexp_f64 v[50:51], v[52:53], v27
	v_dual_cndmask_b32 v49, v51, v49 :: v_dual_cndmask_b32 v48, v50, v48
	s_delay_alu instid0(VALU_DEP_1) | instskip(NEXT) | instid1(VALU_DEP_1)
	v_div_scale_f64 v[50:51], null, v[48:49], v[48:49], 1.0
	v_rcp_f64_e32 v[52:53], v[50:51]
	v_nop
	s_delay_alu instid0(TRANS32_DEP_1) | instskip(NEXT) | instid1(VALU_DEP_1)
	v_fma_f64 v[54:55], -v[50:51], v[52:53], 1.0
	v_fmac_f64_e32 v[52:53], v[52:53], v[54:55]
	s_delay_alu instid0(VALU_DEP_1) | instskip(NEXT) | instid1(VALU_DEP_1)
	v_fma_f64 v[54:55], -v[50:51], v[52:53], 1.0
	v_fmac_f64_e32 v[52:53], v[52:53], v[54:55]
	v_div_scale_f64 v[54:55], vcc_lo, 1.0, v[48:49], 1.0
	s_delay_alu instid0(VALU_DEP_1) | instskip(NEXT) | instid1(VALU_DEP_1)
	v_mul_f64_e32 v[56:57], v[54:55], v[52:53]
	v_fma_f64 v[50:51], -v[50:51], v[56:57], v[54:55]
	s_delay_alu instid0(VALU_DEP_1) | instskip(NEXT) | instid1(VALU_DEP_1)
	v_div_fmas_f64 v[50:51], v[50:51], v[52:53], v[56:57]
	v_div_fixup_f64 v[48:49], v[50:51], v[48:49], 1.0
	s_delay_alu instid0(VALU_DEP_1)
	v_mul_f64_e32 v[46:47], v[46:47], v[48:49]
.LBB12_101:                             ;   in Loop: Header=BB12_95 Depth=3
	s_or_b32 exec_lo, exec_lo, s75
	s_delay_alu instid0(VALU_DEP_1) | instskip(NEXT) | instid1(VALU_DEP_1)
	v_mul_f64_e32 v[44:45], v[44:45], v[48:49]
	v_fma_f64 v[50:51], v[2:3], v[46:47], -v[44:45]
.LBB12_102:                             ;   in Loop: Header=BB12_95 Depth=3
	s_and_not1_saveexec_b32 s74, s74
; %bb.103:                              ;   in Loop: Header=BB12_95 Depth=3
	v_mov_b64_e32 v[46:47], 0
	v_mov_b64_e32 v[48:49], 1.0
; %bb.104:                              ;   in Loop: Header=BB12_95 Depth=3
	s_or_b32 exec_lo, exec_lo, s74
	s_delay_alu instid0(VALU_DEP_3)
	v_mov_b64_e32 v[2:3], v[50:51]
.LBB12_105:                             ;   in Loop: Header=BB12_95 Depth=3
	s_or_b32 exec_lo, exec_lo, s72
	s_cmp_eq_u32 s37, 0
	s_cbranch_scc1 .LBB12_94
; %bb.106:                              ;   in Loop: Header=BB12_95 Depth=3
	global_store_b64 v[38:39], v[2:3], off
	s_branch .LBB12_94
.LBB12_107:                             ;   in Loop: Header=BB12_68 Depth=2
	ds_store_2addr_b32 v58, v30, v26 offset0:5 offset1:7
	s_cbranch_execz .LBB12_80
	s_branch .LBB12_81
.LBB12_108:                             ;   in Loop: Header=BB12_68 Depth=2
	s_or_b32 exec_lo, exec_lo, s35
	ds_store_b64 v58, v[34:35]
.LBB12_109:                             ;   in Loop: Header=BB12_68 Depth=2
	s_or_b32 exec_lo, exec_lo, s33
	global_load_b64 v[38:39], v[32:33], off
.LBB12_110:                             ;   in Loop: Header=BB12_68 Depth=2
	s_wait_xcnt 0x0
	s_or_b32 exec_lo, exec_lo, s27
	s_wait_loadcnt 0x0
	v_add_f64_e64 v[26:27], v[38:39], -v[34:35]
                                        ; implicit-def: $vgpr30
                                        ; implicit-def: $vgpr34_vgpr35
                                        ; implicit-def: $vgpr38_vgpr39
	global_store_b64 v[32:33], v[26:27], off
	global_store_b64 v[0:1], v[2:3], off offset:-8
                                        ; implicit-def: $vgpr32_vgpr33
                                        ; implicit-def: $vgpr26
.LBB12_111:                             ;   in Loop: Header=BB12_68 Depth=2
	s_wait_xcnt 0x0
	s_and_not1_saveexec_b32 s27, s1
	s_cbranch_execz .LBB12_148
; %bb.112:                              ;   in Loop: Header=BB12_68 Depth=2
	s_clause 0x1
	global_load_b64 v[0:1], v30, s[14:15] scale_offset
	global_load_b64 v[40:41], v30, s[44:45] scale_offset
                                        ; implicit-def: $vgpr42_vgpr43
	s_wait_loadcnt 0x1
	v_add_f64_e64 v[36:37], v[0:1], -v[38:39]
	s_wait_loadcnt 0x0
	v_add_f64_e32 v[28:29], v[40:41], v[40:41]
	s_delay_alu instid0(VALU_DEP_1) | instskip(SKIP_2) | instid1(SALU_CYCLE_1)
	v_cmp_ngt_f64_e64 s1, |v[36:37]|, |v[28:29]|
	s_wait_xcnt 0x0
	s_and_saveexec_b32 s33, s1
	s_xor_b32 s1, exec_lo, s33
	s_cbranch_execz .LBB12_118
; %bb.113:                              ;   in Loop: Header=BB12_68 Depth=2
	v_cmp_nlt_f64_e64 s33, |v[36:37]|, |v[28:29]|
                                        ; implicit-def: $vgpr42_vgpr43
	s_and_saveexec_b32 s35, s33
	s_delay_alu instid0(SALU_CYCLE_1)
	s_xor_b32 s33, exec_lo, s35
; %bb.114:                              ;   in Loop: Header=BB12_68 Depth=2
	v_mul_f64_e64 v[42:43], |v[28:29]|, s[64:65]
; %bb.115:                              ;   in Loop: Header=BB12_68 Depth=2
	s_and_not1_saveexec_b32 s33, s33
	s_cbranch_execz .LBB12_117
; %bb.116:                              ;   in Loop: Header=BB12_68 Depth=2
	v_and_b32_e32 v3, 0x7fffffff, v37
	v_dual_mov_b32 v2, v36 :: v_dual_mov_b32 v42, v28
	v_and_b32_e32 v43, 0x7fffffff, v29
	s_delay_alu instid0(VALU_DEP_1) | instskip(SKIP_1) | instid1(VALU_DEP_2)
	v_div_scale_f64 v[44:45], null, v[42:43], v[42:43], v[2:3]
	v_div_scale_f64 v[2:3], vcc_lo, v[2:3], v[42:43], v[2:3]
	v_rcp_f64_e32 v[46:47], v[44:45]
	v_nop
	s_delay_alu instid0(TRANS32_DEP_1) | instskip(NEXT) | instid1(VALU_DEP_1)
	v_fma_f64 v[48:49], -v[44:45], v[46:47], 1.0
	v_fmac_f64_e32 v[46:47], v[46:47], v[48:49]
	s_delay_alu instid0(VALU_DEP_1) | instskip(NEXT) | instid1(VALU_DEP_1)
	v_fma_f64 v[48:49], -v[44:45], v[46:47], 1.0
	v_fmac_f64_e32 v[46:47], v[46:47], v[48:49]
	s_delay_alu instid0(VALU_DEP_1) | instskip(NEXT) | instid1(VALU_DEP_1)
	v_mul_f64_e32 v[42:43], v[2:3], v[46:47]
	v_fma_f64 v[2:3], -v[44:45], v[42:43], v[2:3]
	s_delay_alu instid0(VALU_DEP_1) | instskip(NEXT) | instid1(VALU_DEP_1)
	v_div_fmas_f64 v[2:3], v[2:3], v[46:47], v[42:43]
	v_div_fixup_f64 v[2:3], v[2:3], |v[28:29]|, |v[36:37]|
	s_delay_alu instid0(VALU_DEP_1) | instskip(NEXT) | instid1(VALU_DEP_1)
	v_fma_f64 v[2:3], v[2:3], v[2:3], 1.0
	v_cmp_gt_f64_e32 vcc_lo, 0x10000000, v[2:3]
	v_cndmask_b32_e64 v27, 0, 0x100, vcc_lo
	s_delay_alu instid0(VALU_DEP_1) | instskip(SKIP_1) | instid1(VALU_DEP_2)
	v_ldexp_f64 v[2:3], v[2:3], v27
	v_cndmask_b32_e64 v27, 0, 0xffffff80, vcc_lo
	v_rsq_f64_e32 v[42:43], v[2:3]
	v_cmp_class_f64_e64 vcc_lo, v[2:3], 0x260
	s_delay_alu instid0(TRANS32_DEP_1) | instskip(SKIP_1) | instid1(VALU_DEP_1)
	v_mul_f64_e32 v[44:45], v[2:3], v[42:43]
	v_mul_f64_e32 v[42:43], 0.5, v[42:43]
	v_fma_f64 v[46:47], -v[42:43], v[44:45], 0.5
	s_delay_alu instid0(VALU_DEP_1) | instskip(SKIP_1) | instid1(VALU_DEP_2)
	v_fmac_f64_e32 v[44:45], v[44:45], v[46:47]
	v_fmac_f64_e32 v[42:43], v[42:43], v[46:47]
	v_fma_f64 v[46:47], -v[44:45], v[44:45], v[2:3]
	s_delay_alu instid0(VALU_DEP_1) | instskip(NEXT) | instid1(VALU_DEP_1)
	v_fmac_f64_e32 v[44:45], v[46:47], v[42:43]
	v_fma_f64 v[46:47], -v[44:45], v[44:45], v[2:3]
	s_delay_alu instid0(VALU_DEP_1) | instskip(NEXT) | instid1(VALU_DEP_1)
	v_fmac_f64_e32 v[44:45], v[46:47], v[42:43]
	v_ldexp_f64 v[42:43], v[44:45], v27
	s_delay_alu instid0(VALU_DEP_1) | instskip(NEXT) | instid1(VALU_DEP_1)
	v_dual_cndmask_b32 v3, v43, v3 :: v_dual_cndmask_b32 v2, v42, v2
	v_mul_f64_e64 v[42:43], |v[28:29]|, v[2:3]
.LBB12_117:                             ;   in Loop: Header=BB12_68 Depth=2
	s_or_b32 exec_lo, exec_lo, s33
.LBB12_118:                             ;   in Loop: Header=BB12_68 Depth=2
	s_and_not1_saveexec_b32 s1, s1
	s_cbranch_execz .LBB12_120
; %bb.119:                              ;   in Loop: Header=BB12_68 Depth=2
	v_and_b32_e32 v3, 0x7fffffff, v29
	v_dual_mov_b32 v2, v28 :: v_dual_mov_b32 v42, v36
	v_and_b32_e32 v43, 0x7fffffff, v37
	s_delay_alu instid0(VALU_DEP_1) | instskip(SKIP_1) | instid1(VALU_DEP_2)
	v_div_scale_f64 v[44:45], null, v[42:43], v[42:43], v[2:3]
	v_div_scale_f64 v[2:3], vcc_lo, v[2:3], v[42:43], v[2:3]
	v_rcp_f64_e32 v[46:47], v[44:45]
	v_nop
	s_delay_alu instid0(TRANS32_DEP_1) | instskip(NEXT) | instid1(VALU_DEP_1)
	v_fma_f64 v[48:49], -v[44:45], v[46:47], 1.0
	v_fmac_f64_e32 v[46:47], v[46:47], v[48:49]
	s_delay_alu instid0(VALU_DEP_1) | instskip(NEXT) | instid1(VALU_DEP_1)
	v_fma_f64 v[48:49], -v[44:45], v[46:47], 1.0
	v_fmac_f64_e32 v[46:47], v[46:47], v[48:49]
	s_delay_alu instid0(VALU_DEP_1) | instskip(NEXT) | instid1(VALU_DEP_1)
	v_mul_f64_e32 v[42:43], v[2:3], v[46:47]
	v_fma_f64 v[2:3], -v[44:45], v[42:43], v[2:3]
	s_delay_alu instid0(VALU_DEP_1) | instskip(NEXT) | instid1(VALU_DEP_1)
	v_div_fmas_f64 v[2:3], v[2:3], v[46:47], v[42:43]
	v_div_fixup_f64 v[2:3], v[2:3], |v[36:37]|, |v[28:29]|
	s_delay_alu instid0(VALU_DEP_1) | instskip(NEXT) | instid1(VALU_DEP_1)
	v_fma_f64 v[2:3], v[2:3], v[2:3], 1.0
	v_cmp_gt_f64_e32 vcc_lo, 0x10000000, v[2:3]
	v_cndmask_b32_e64 v27, 0, 0x100, vcc_lo
	s_delay_alu instid0(VALU_DEP_1) | instskip(SKIP_1) | instid1(VALU_DEP_2)
	v_ldexp_f64 v[2:3], v[2:3], v27
	v_cndmask_b32_e64 v27, 0, 0xffffff80, vcc_lo
	v_rsq_f64_e32 v[42:43], v[2:3]
	v_cmp_class_f64_e64 vcc_lo, v[2:3], 0x260
	s_delay_alu instid0(TRANS32_DEP_1) | instskip(SKIP_1) | instid1(VALU_DEP_1)
	v_mul_f64_e32 v[44:45], v[2:3], v[42:43]
	v_mul_f64_e32 v[42:43], 0.5, v[42:43]
	v_fma_f64 v[46:47], -v[42:43], v[44:45], 0.5
	s_delay_alu instid0(VALU_DEP_1) | instskip(SKIP_1) | instid1(VALU_DEP_2)
	v_fmac_f64_e32 v[44:45], v[44:45], v[46:47]
	v_fmac_f64_e32 v[42:43], v[42:43], v[46:47]
	v_fma_f64 v[46:47], -v[44:45], v[44:45], v[2:3]
	s_delay_alu instid0(VALU_DEP_1) | instskip(NEXT) | instid1(VALU_DEP_1)
	v_fmac_f64_e32 v[44:45], v[46:47], v[42:43]
	v_fma_f64 v[46:47], -v[44:45], v[44:45], v[2:3]
	s_delay_alu instid0(VALU_DEP_1) | instskip(NEXT) | instid1(VALU_DEP_1)
	v_fmac_f64_e32 v[44:45], v[46:47], v[42:43]
	v_ldexp_f64 v[42:43], v[44:45], v27
	s_delay_alu instid0(VALU_DEP_1) | instskip(NEXT) | instid1(VALU_DEP_1)
	v_dual_cndmask_b32 v3, v43, v3 :: v_dual_cndmask_b32 v2, v42, v2
	v_mul_f64_e64 v[42:43], |v[36:37]|, v[2:3]
.LBB12_120:                             ;   in Loop: Header=BB12_68 Depth=2
	s_or_b32 exec_lo, exec_lo, s1
	v_cmp_gt_f64_e64 vcc_lo, |v[0:1]|, |v[38:39]|
	v_add_f64_e32 v[46:47], v[38:39], v[0:1]
	s_mov_b32 s33, exec_lo
	v_dual_cndmask_b32 v45, v1, v39 :: v_dual_cndmask_b32 v44, v0, v38
	v_dual_cndmask_b32 v39, v39, v1 :: v_dual_cndmask_b32 v38, v38, v0
                                        ; implicit-def: $vgpr2_vgpr3
	s_delay_alu instid0(VALU_DEP_3)
	v_cmpx_ngt_f64_e32 0, v[46:47]
	s_xor_b32 s33, exec_lo, s33
	s_cbranch_execz .LBB12_126
; %bb.121:                              ;   in Loop: Header=BB12_68 Depth=2
	s_mov_b32 s1, exec_lo
                                        ; implicit-def: $vgpr2_vgpr3
	v_cmpx_nlt_f64_e32 0, v[46:47]
	s_xor_b32 s1, exec_lo, s1
	s_cbranch_execz .LBB12_123
; %bb.122:                              ;   in Loop: Header=BB12_68 Depth=2
	v_mul_f64_e32 v[0:1], 0.5, v[42:43]
	v_mul_f64_e32 v[2:3], -0.5, v[42:43]
                                        ; implicit-def: $vgpr46_vgpr47
                                        ; implicit-def: $vgpr38_vgpr39
                                        ; implicit-def: $vgpr40_vgpr41
                                        ; implicit-def: $vgpr44_vgpr45
.LBB12_123:                             ;   in Loop: Header=BB12_68 Depth=2
	s_and_not1_saveexec_b32 s35, s1
	s_cbranch_execz .LBB12_125
; %bb.124:                              ;   in Loop: Header=BB12_68 Depth=2
	v_add_f64_e32 v[0:1], v[46:47], v[42:43]
	s_delay_alu instid0(VALU_DEP_1) | instskip(NEXT) | instid1(VALU_DEP_1)
	v_mul_f64_e32 v[0:1], 0.5, v[0:1]
	v_div_scale_f64 v[2:3], null, v[0:1], v[0:1], v[38:39]
	v_div_scale_f64 v[46:47], null, v[0:1], v[0:1], v[40:41]
	v_div_scale_f64 v[56:57], vcc_lo, v[38:39], v[0:1], v[38:39]
	s_delay_alu instid0(VALU_DEP_3) | instskip(NEXT) | instid1(VALU_DEP_2)
	v_rcp_f64_e32 v[48:49], v[2:3]
	v_rcp_f64_e32 v[50:51], v[46:47]
	s_delay_alu instid0(TRANS32_DEP_2) | instskip(NEXT) | instid1(TRANS32_DEP_1)
	v_fma_f64 v[52:53], -v[2:3], v[48:49], 1.0
	v_fma_f64 v[54:55], -v[46:47], v[50:51], 1.0
	s_delay_alu instid0(VALU_DEP_2) | instskip(NEXT) | instid1(VALU_DEP_2)
	v_fmac_f64_e32 v[48:49], v[48:49], v[52:53]
	v_fmac_f64_e32 v[50:51], v[50:51], v[54:55]
	s_delay_alu instid0(VALU_DEP_2) | instskip(NEXT) | instid1(VALU_DEP_2)
	v_fma_f64 v[52:53], -v[2:3], v[48:49], 1.0
	v_fma_f64 v[54:55], -v[46:47], v[50:51], 1.0
	s_delay_alu instid0(VALU_DEP_2) | instskip(SKIP_1) | instid1(VALU_DEP_3)
	v_fmac_f64_e32 v[48:49], v[48:49], v[52:53]
	v_div_scale_f64 v[52:53], s1, v[40:41], v[0:1], v[40:41]
	v_fmac_f64_e32 v[50:51], v[50:51], v[54:55]
	s_delay_alu instid0(VALU_DEP_3) | instskip(NEXT) | instid1(VALU_DEP_2)
	v_mul_f64_e32 v[54:55], v[56:57], v[48:49]
	v_mul_f64_e32 v[62:63], v[52:53], v[50:51]
	s_delay_alu instid0(VALU_DEP_2) | instskip(NEXT) | instid1(VALU_DEP_2)
	v_fma_f64 v[2:3], -v[2:3], v[54:55], v[56:57]
	v_fma_f64 v[46:47], -v[46:47], v[62:63], v[52:53]
	s_delay_alu instid0(VALU_DEP_2) | instskip(SKIP_1) | instid1(VALU_DEP_2)
	v_div_fmas_f64 v[2:3], v[2:3], v[48:49], v[54:55]
	s_mov_b32 vcc_lo, s1
	v_div_fmas_f64 v[46:47], v[46:47], v[50:51], v[62:63]
	s_delay_alu instid0(VALU_DEP_2) | instskip(NEXT) | instid1(VALU_DEP_2)
	v_div_fixup_f64 v[2:3], v[2:3], v[0:1], v[38:39]
	v_div_fixup_f64 v[46:47], v[46:47], v[0:1], v[40:41]
	s_delay_alu instid0(VALU_DEP_1) | instskip(NEXT) | instid1(VALU_DEP_1)
	v_mul_f64_e32 v[38:39], v[40:41], v[46:47]
	v_fma_f64 v[2:3], v[44:45], v[2:3], -v[38:39]
.LBB12_125:                             ;   in Loop: Header=BB12_68 Depth=2
	s_or_b32 exec_lo, exec_lo, s35
                                        ; implicit-def: $vgpr46_vgpr47
                                        ; implicit-def: $vgpr38_vgpr39
                                        ; implicit-def: $vgpr40_vgpr41
                                        ; implicit-def: $vgpr44_vgpr45
.LBB12_126:                             ;   in Loop: Header=BB12_68 Depth=2
	s_or_saveexec_b32 s33, s33
	v_mov_b32_e32 v27, 1
	s_xor_b32 exec_lo, exec_lo, s33
	s_cbranch_execz .LBB12_128
; %bb.127:                              ;   in Loop: Header=BB12_68 Depth=2
	v_dual_add_f64 v[0:1], v[46:47], -v[42:43] :: v_dual_mov_b32 v27, -1
	s_delay_alu instid0(VALU_DEP_1) | instskip(NEXT) | instid1(VALU_DEP_1)
	v_mul_f64_e32 v[0:1], 0.5, v[0:1]
	v_div_scale_f64 v[2:3], null, v[0:1], v[0:1], v[38:39]
	v_div_scale_f64 v[46:47], null, v[0:1], v[0:1], v[40:41]
	v_div_scale_f64 v[56:57], vcc_lo, v[38:39], v[0:1], v[38:39]
	s_delay_alu instid0(VALU_DEP_3) | instskip(NEXT) | instid1(VALU_DEP_2)
	v_rcp_f64_e32 v[48:49], v[2:3]
	v_rcp_f64_e32 v[50:51], v[46:47]
	s_delay_alu instid0(TRANS32_DEP_2) | instskip(NEXT) | instid1(TRANS32_DEP_1)
	v_fma_f64 v[52:53], -v[2:3], v[48:49], 1.0
	v_fma_f64 v[54:55], -v[46:47], v[50:51], 1.0
	s_delay_alu instid0(VALU_DEP_2) | instskip(NEXT) | instid1(VALU_DEP_2)
	v_fmac_f64_e32 v[48:49], v[48:49], v[52:53]
	v_fmac_f64_e32 v[50:51], v[50:51], v[54:55]
	s_delay_alu instid0(VALU_DEP_2) | instskip(NEXT) | instid1(VALU_DEP_2)
	v_fma_f64 v[52:53], -v[2:3], v[48:49], 1.0
	v_fma_f64 v[54:55], -v[46:47], v[50:51], 1.0
	s_delay_alu instid0(VALU_DEP_2) | instskip(SKIP_1) | instid1(VALU_DEP_3)
	v_fmac_f64_e32 v[48:49], v[48:49], v[52:53]
	v_div_scale_f64 v[52:53], s1, v[40:41], v[0:1], v[40:41]
	v_fmac_f64_e32 v[50:51], v[50:51], v[54:55]
	s_delay_alu instid0(VALU_DEP_3) | instskip(NEXT) | instid1(VALU_DEP_2)
	v_mul_f64_e32 v[54:55], v[56:57], v[48:49]
	v_mul_f64_e32 v[62:63], v[52:53], v[50:51]
	s_delay_alu instid0(VALU_DEP_2) | instskip(NEXT) | instid1(VALU_DEP_2)
	v_fma_f64 v[2:3], -v[2:3], v[54:55], v[56:57]
	v_fma_f64 v[46:47], -v[46:47], v[62:63], v[52:53]
	s_delay_alu instid0(VALU_DEP_2) | instskip(SKIP_1) | instid1(VALU_DEP_2)
	v_div_fmas_f64 v[2:3], v[2:3], v[48:49], v[54:55]
	s_mov_b32 vcc_lo, s1
	v_div_fmas_f64 v[46:47], v[46:47], v[50:51], v[62:63]
	s_delay_alu instid0(VALU_DEP_2) | instskip(NEXT) | instid1(VALU_DEP_2)
	v_div_fixup_f64 v[2:3], v[2:3], v[0:1], v[38:39]
	v_div_fixup_f64 v[46:47], v[46:47], v[0:1], v[40:41]
	s_delay_alu instid0(VALU_DEP_1) | instskip(NEXT) | instid1(VALU_DEP_1)
	v_mul_f64_e32 v[38:39], v[40:41], v[46:47]
	v_fma_f64 v[2:3], v[44:45], v[2:3], -v[38:39]
.LBB12_128:                             ;   in Loop: Header=BB12_68 Depth=2
	s_or_b32 exec_lo, exec_lo, s33
	s_delay_alu instid0(SALU_CYCLE_1)
	s_mov_b32 s1, exec_lo
                                        ; implicit-def: $vgpr38_vgpr39
	v_cmpx_le_f64_e32 0, v[36:37]
	s_xor_b32 s1, exec_lo, s1
; %bb.129:                              ;   in Loop: Header=BB12_68 Depth=2
	v_add_f64_e32 v[38:39], v[36:37], v[42:43]
                                        ; implicit-def: $vgpr42_vgpr43
                                        ; implicit-def: $vgpr36_vgpr37
; %bb.130:                              ;   in Loop: Header=BB12_68 Depth=2
	s_or_saveexec_b32 s1, s1
	v_mov_b32_e32 v44, 1
	s_xor_b32 exec_lo, exec_lo, s1
; %bb.131:                              ;   in Loop: Header=BB12_68 Depth=2
	v_dual_add_f64 v[38:39], v[36:37], -v[42:43] :: v_dual_mov_b32 v44, -1
; %bb.132:                              ;   in Loop: Header=BB12_68 Depth=2
	s_or_b32 exec_lo, exec_lo, s1
	s_delay_alu instid0(VALU_DEP_1) | instskip(SKIP_1) | instid1(SALU_CYCLE_1)
	v_cmp_ngt_f64_e64 s1, |v[38:39]|, |v[28:29]|
                                        ; implicit-def: $vgpr36_vgpr37
                                        ; implicit-def: $vgpr40_vgpr41
	s_and_saveexec_b32 s33, s1
	s_xor_b32 s1, exec_lo, s33
	s_cbranch_execz .LBB12_136
; %bb.133:                              ;   in Loop: Header=BB12_68 Depth=2
	v_mov_b64_e32 v[36:37], 0
	v_mov_b64_e32 v[40:41], 1.0
	s_mov_b32 s33, exec_lo
	v_cmpx_neq_f64_e32 0, v[28:29]
	s_cbranch_execz .LBB12_135
; %bb.134:                              ;   in Loop: Header=BB12_68 Depth=2
	v_div_scale_f64 v[36:37], null, v[28:29], v[28:29], -v[38:39]
	v_div_scale_f64 v[46:47], vcc_lo, -v[38:39], v[28:29], -v[38:39]
	s_delay_alu instid0(VALU_DEP_2) | instskip(SKIP_1) | instid1(TRANS32_DEP_1)
	v_rcp_f64_e32 v[40:41], v[36:37]
	v_nop
	v_fma_f64 v[42:43], -v[36:37], v[40:41], 1.0
	s_delay_alu instid0(VALU_DEP_1) | instskip(NEXT) | instid1(VALU_DEP_1)
	v_fmac_f64_e32 v[40:41], v[40:41], v[42:43]
	v_fma_f64 v[42:43], -v[36:37], v[40:41], 1.0
	s_delay_alu instid0(VALU_DEP_1) | instskip(NEXT) | instid1(VALU_DEP_1)
	v_fmac_f64_e32 v[40:41], v[40:41], v[42:43]
	v_mul_f64_e32 v[42:43], v[46:47], v[40:41]
	s_delay_alu instid0(VALU_DEP_1) | instskip(NEXT) | instid1(VALU_DEP_1)
	v_fma_f64 v[36:37], -v[36:37], v[42:43], v[46:47]
	v_div_fmas_f64 v[36:37], v[36:37], v[40:41], v[42:43]
	s_delay_alu instid0(VALU_DEP_1) | instskip(NEXT) | instid1(VALU_DEP_1)
	v_div_fixup_f64 v[28:29], v[36:37], v[28:29], -v[38:39]
	v_fma_f64 v[36:37], v[28:29], v[28:29], 1.0
	s_delay_alu instid0(VALU_DEP_1) | instskip(SKIP_1) | instid1(VALU_DEP_1)
	v_cmp_gt_f64_e32 vcc_lo, 0x10000000, v[36:37]
	v_cndmask_b32_e64 v31, 0, 0x100, vcc_lo
	v_ldexp_f64 v[36:37], v[36:37], v31
	v_cndmask_b32_e64 v31, 0, 0xffffff80, vcc_lo
	s_delay_alu instid0(VALU_DEP_2) | instskip(SKIP_1) | instid1(TRANS32_DEP_1)
	v_rsq_f64_e32 v[38:39], v[36:37]
	v_cmp_class_f64_e64 vcc_lo, v[36:37], 0x260
	v_mul_f64_e32 v[40:41], v[36:37], v[38:39]
	v_mul_f64_e32 v[38:39], 0.5, v[38:39]
	s_delay_alu instid0(VALU_DEP_1) | instskip(NEXT) | instid1(VALU_DEP_1)
	v_fma_f64 v[42:43], -v[38:39], v[40:41], 0.5
	v_fmac_f64_e32 v[40:41], v[40:41], v[42:43]
	v_fmac_f64_e32 v[38:39], v[38:39], v[42:43]
	s_delay_alu instid0(VALU_DEP_2) | instskip(NEXT) | instid1(VALU_DEP_1)
	v_fma_f64 v[42:43], -v[40:41], v[40:41], v[36:37]
	v_fmac_f64_e32 v[40:41], v[42:43], v[38:39]
	s_delay_alu instid0(VALU_DEP_1) | instskip(NEXT) | instid1(VALU_DEP_1)
	v_fma_f64 v[42:43], -v[40:41], v[40:41], v[36:37]
	v_fmac_f64_e32 v[40:41], v[42:43], v[38:39]
	s_delay_alu instid0(VALU_DEP_1) | instskip(NEXT) | instid1(VALU_DEP_1)
	v_ldexp_f64 v[38:39], v[40:41], v31
	v_dual_cndmask_b32 v37, v39, v37 :: v_dual_cndmask_b32 v36, v38, v36
	s_delay_alu instid0(VALU_DEP_1) | instskip(NEXT) | instid1(VALU_DEP_1)
	v_div_scale_f64 v[38:39], null, v[36:37], v[36:37], 1.0
	v_rcp_f64_e32 v[40:41], v[38:39]
	v_nop
	s_delay_alu instid0(TRANS32_DEP_1) | instskip(NEXT) | instid1(VALU_DEP_1)
	v_fma_f64 v[42:43], -v[38:39], v[40:41], 1.0
	v_fmac_f64_e32 v[40:41], v[40:41], v[42:43]
	s_delay_alu instid0(VALU_DEP_1) | instskip(NEXT) | instid1(VALU_DEP_1)
	v_fma_f64 v[42:43], -v[38:39], v[40:41], 1.0
	v_fmac_f64_e32 v[40:41], v[40:41], v[42:43]
	v_div_scale_f64 v[42:43], vcc_lo, 1.0, v[36:37], 1.0
	s_delay_alu instid0(VALU_DEP_1) | instskip(NEXT) | instid1(VALU_DEP_1)
	v_mul_f64_e32 v[46:47], v[42:43], v[40:41]
	v_fma_f64 v[38:39], -v[38:39], v[46:47], v[42:43]
	s_delay_alu instid0(VALU_DEP_1) | instskip(NEXT) | instid1(VALU_DEP_1)
	v_div_fmas_f64 v[38:39], v[38:39], v[40:41], v[46:47]
	v_div_fixup_f64 v[40:41], v[38:39], v[36:37], 1.0
	s_delay_alu instid0(VALU_DEP_1)
	v_mul_f64_e32 v[36:37], v[28:29], v[40:41]
.LBB12_135:                             ;   in Loop: Header=BB12_68 Depth=2
	s_or_b32 exec_lo, exec_lo, s33
                                        ; implicit-def: $vgpr38_vgpr39
                                        ; implicit-def: $vgpr28_vgpr29
.LBB12_136:                             ;   in Loop: Header=BB12_68 Depth=2
	s_and_not1_saveexec_b32 s1, s1
	s_cbranch_execz .LBB12_138
; %bb.137:                              ;   in Loop: Header=BB12_68 Depth=2
	v_div_scale_f64 v[36:37], null, v[38:39], v[38:39], -v[28:29]
	v_div_scale_f64 v[46:47], vcc_lo, -v[28:29], v[38:39], -v[28:29]
	s_delay_alu instid0(VALU_DEP_2) | instskip(SKIP_1) | instid1(TRANS32_DEP_1)
	v_rcp_f64_e32 v[40:41], v[36:37]
	v_nop
	v_fma_f64 v[42:43], -v[36:37], v[40:41], 1.0
	s_delay_alu instid0(VALU_DEP_1) | instskip(NEXT) | instid1(VALU_DEP_1)
	v_fmac_f64_e32 v[40:41], v[40:41], v[42:43]
	v_fma_f64 v[42:43], -v[36:37], v[40:41], 1.0
	s_delay_alu instid0(VALU_DEP_1) | instskip(NEXT) | instid1(VALU_DEP_1)
	v_fmac_f64_e32 v[40:41], v[40:41], v[42:43]
	v_mul_f64_e32 v[42:43], v[46:47], v[40:41]
	s_delay_alu instid0(VALU_DEP_1) | instskip(NEXT) | instid1(VALU_DEP_1)
	v_fma_f64 v[36:37], -v[36:37], v[42:43], v[46:47]
	v_div_fmas_f64 v[36:37], v[36:37], v[40:41], v[42:43]
	s_delay_alu instid0(VALU_DEP_1) | instskip(NEXT) | instid1(VALU_DEP_1)
	v_div_fixup_f64 v[28:29], v[36:37], v[38:39], -v[28:29]
	v_fma_f64 v[36:37], v[28:29], v[28:29], 1.0
	s_delay_alu instid0(VALU_DEP_1) | instskip(SKIP_1) | instid1(VALU_DEP_1)
	v_cmp_gt_f64_e32 vcc_lo, 0x10000000, v[36:37]
	v_cndmask_b32_e64 v31, 0, 0x100, vcc_lo
	v_ldexp_f64 v[36:37], v[36:37], v31
	v_cndmask_b32_e64 v31, 0, 0xffffff80, vcc_lo
	s_delay_alu instid0(VALU_DEP_2) | instskip(SKIP_1) | instid1(TRANS32_DEP_1)
	v_rsq_f64_e32 v[38:39], v[36:37]
	v_cmp_class_f64_e64 vcc_lo, v[36:37], 0x260
	v_mul_f64_e32 v[40:41], v[36:37], v[38:39]
	v_mul_f64_e32 v[38:39], 0.5, v[38:39]
	s_delay_alu instid0(VALU_DEP_1) | instskip(NEXT) | instid1(VALU_DEP_1)
	v_fma_f64 v[42:43], -v[38:39], v[40:41], 0.5
	v_fmac_f64_e32 v[40:41], v[40:41], v[42:43]
	v_fmac_f64_e32 v[38:39], v[38:39], v[42:43]
	s_delay_alu instid0(VALU_DEP_2) | instskip(NEXT) | instid1(VALU_DEP_1)
	v_fma_f64 v[42:43], -v[40:41], v[40:41], v[36:37]
	v_fmac_f64_e32 v[40:41], v[42:43], v[38:39]
	s_delay_alu instid0(VALU_DEP_1) | instskip(NEXT) | instid1(VALU_DEP_1)
	v_fma_f64 v[42:43], -v[40:41], v[40:41], v[36:37]
	v_fmac_f64_e32 v[40:41], v[42:43], v[38:39]
	s_delay_alu instid0(VALU_DEP_1) | instskip(NEXT) | instid1(VALU_DEP_1)
	v_ldexp_f64 v[38:39], v[40:41], v31
	v_dual_cndmask_b32 v37, v39, v37 :: v_dual_cndmask_b32 v36, v38, v36
	s_delay_alu instid0(VALU_DEP_1) | instskip(NEXT) | instid1(VALU_DEP_1)
	v_div_scale_f64 v[38:39], null, v[36:37], v[36:37], 1.0
	v_rcp_f64_e32 v[40:41], v[38:39]
	v_nop
	s_delay_alu instid0(TRANS32_DEP_1) | instskip(NEXT) | instid1(VALU_DEP_1)
	v_fma_f64 v[42:43], -v[38:39], v[40:41], 1.0
	v_fmac_f64_e32 v[40:41], v[40:41], v[42:43]
	s_delay_alu instid0(VALU_DEP_1) | instskip(NEXT) | instid1(VALU_DEP_1)
	v_fma_f64 v[42:43], -v[38:39], v[40:41], 1.0
	v_fmac_f64_e32 v[40:41], v[40:41], v[42:43]
	v_div_scale_f64 v[42:43], vcc_lo, 1.0, v[36:37], 1.0
	s_delay_alu instid0(VALU_DEP_1) | instskip(NEXT) | instid1(VALU_DEP_1)
	v_mul_f64_e32 v[46:47], v[42:43], v[40:41]
	v_fma_f64 v[38:39], -v[38:39], v[46:47], v[42:43]
	s_delay_alu instid0(VALU_DEP_1) | instskip(NEXT) | instid1(VALU_DEP_1)
	v_div_fmas_f64 v[38:39], v[38:39], v[40:41], v[46:47]
	v_div_fixup_f64 v[36:37], v[38:39], v[36:37], 1.0
	s_delay_alu instid0(VALU_DEP_1)
	v_mul_f64_e32 v[40:41], v[28:29], v[36:37]
.LBB12_138:                             ;   in Loop: Header=BB12_68 Depth=2
	s_or_b32 exec_lo, exec_lo, s1
	v_cmp_eq_u32_e32 vcc_lo, v27, v44
	v_ashrrev_i32_e32 v31, 31, v30
	s_delay_alu instid0(VALU_DEP_3) | instskip(SKIP_2) | instid1(VALU_DEP_4)
	v_xor_b32_e32 v38, 0x80000000, v37
	v_lshl_add_u64 v[34:35], v[34:35], 3, s[44:45]
	v_dual_cndmask_b32 v37, v37, v41 :: v_dual_add_nc_u32 v26, -2, v26
	v_lshl_add_u64 v[28:29], v[30:31], 3, s[48:49]
	s_delay_alu instid0(VALU_DEP_4) | instskip(SKIP_1) | instid1(VALU_DEP_3)
	v_dual_cndmask_b32 v31, v41, v38 :: v_dual_cndmask_b32 v30, v40, v36
	v_cndmask_b32_e32 v36, v36, v40, vcc_lo
	v_lshl_add_u64 v[38:39], s[28:29], 3, v[28:29]
	s_clause 0x1
	global_store_b64 v[28:29], v[30:31], off
	global_store_b64 v[38:39], v[36:37], off offset:-8
	global_store_b128 v[32:33], v[0:3], off offset:-8
	global_store_b64 v[34:35], v[8:9], off offset:-8
	ds_store_b32 v58, v26 offset:16
	s_wait_xcnt 0x0
	s_or_b32 exec_lo, exec_lo, s27
                                        ; implicit-def: $vgpr0
.LBB12_139:                             ;   in Loop: Header=BB12_68 Depth=2
	s_and_not1_saveexec_b32 s1, s6
.LBB12_140:                             ;   in Loop: Header=BB12_68 Depth=2
	ds_store_b32 v58, v0 offset:16
.LBB12_141:                             ;   in Loop: Header=BB12_68 Depth=2
	s_or_b32 exec_lo, exec_lo, s1
.LBB12_142:                             ;   in Loop: Header=BB12_68 Depth=2
	s_delay_alu instid0(SALU_CYCLE_1)
	s_or_b32 exec_lo, exec_lo, s3
	s_wait_storecnt_dscnt 0x0
	s_barrier_signal -1
	s_barrier_wait -1
	ds_load_b64 v[0:1], v58 offset:16
	s_wait_dscnt 0x0
	v_readfirstlane_b32 s76, v1
	s_delay_alu instid0(VALU_DEP_1)
	v_cmp_eq_u32_e32 vcc_lo, s76, v0
	v_mov_b32_e32 v26, s76
	s_cbranch_vccnz .LBB12_67
; %bb.143:                              ;   in Loop: Header=BB12_68 Depth=2
	s_and_saveexec_b32 s1, s0
	s_cbranch_execz .LBB12_66
; %bb.144:                              ;   in Loop: Header=BB12_68 Depth=2
	ds_load_b32 v0, v58 offset:28
	s_mul_i32 s78, s76, s7
	s_ashr_i32 s77, s76, 31
	s_ashr_i32 s79, s78, 31
	s_lshl_b64 s[74:75], s[76:77], 3
	s_lshl_b64 s[80:81], s[78:79], 3
	v_mov_b32_e32 v2, v4
	s_add_nc_u64 s[78:79], s[46:47], s[80:81]
	s_add_nc_u64 s[74:75], s[48:49], s[74:75]
	s_mov_b32 s6, 0
	s_wait_dscnt 0x0
	v_readfirstlane_b32 s3, v0
	v_add_nc_u64_e32 v[0:1], s[80:81], v[10:11]
	s_sub_co_i32 s76, s3, s76
	s_delay_alu instid0(SALU_CYCLE_1) | instskip(SKIP_2) | instid1(SALU_CYCLE_1)
	s_cmp_gt_i32 s76, 0
	s_cselect_b32 s3, -1, 0
	s_ashr_i32 s77, s76, 31
	s_mul_u64 s[80:81], s[76:77], s[50:51]
	s_delay_alu instid0(SALU_CYCLE_1) | instskip(NEXT) | instid1(SALU_CYCLE_1)
	s_lshl_b64 s[80:81], s[80:81], 3
	s_add_nc_u64 s[80:81], s[78:79], s[80:81]
	s_branch .LBB12_146
.LBB12_145:                             ;   in Loop: Header=BB12_146 Depth=3
	v_ashrrev_i32_e32 v3, 31, v2
	v_add_nc_u64_e32 v[0:1], s[24:25], v[0:1]
	s_delay_alu instid0(VALU_DEP_2)
	v_lshl_add_u64 v[28:29], v[2:3], 3, s[80:81]
	s_wait_xcnt 0x0
	v_add_nc_u32_e32 v2, s34, v2
	s_wait_loadcnt 0x0
	global_store_b64 v[28:29], v[26:27], off
	v_cmp_le_i32_e32 vcc_lo, s28, v2
	s_or_b32 s6, vcc_lo, s6
	s_wait_xcnt 0x0
	s_and_not1_b32 exec_lo, exec_lo, s6
	s_cbranch_execz .LBB12_66
.LBB12_146:                             ;   Parent Loop BB12_7 Depth=1
                                        ;     Parent Loop BB12_68 Depth=2
                                        ; =>    This Loop Header: Depth=3
                                        ;         Child Loop BB12_147 Depth 4
	global_load_b64 v[26:27], v2, s[78:79] scale_offset
	v_mov_b64_e32 v[28:29], v[0:1]
	s_and_not1_b32 vcc_lo, exec_lo, s3
	s_mov_b64 s[82:83], s[74:75]
	s_mov_b32 s27, s76
	s_cbranch_vccnz .LBB12_145
.LBB12_147:                             ;   Parent Loop BB12_7 Depth=1
                                        ;     Parent Loop BB12_68 Depth=2
                                        ;       Parent Loop BB12_146 Depth=3
                                        ; =>      This Inner Loop Header: Depth=4
	s_delay_alu instid0(VALU_DEP_1)
	v_add_nc_u64_e32 v[30:31], s[66:67], v[28:29]
	s_add_nc_u64 s[84:85], s[82:83], s[62:63]
	s_add_co_i32 s27, s27, -1
	global_load_b64 v[32:33], v[30:31], off
	s_clause 0x1
	global_load_b64 v[34:35], v58, s[84:85]
	global_load_b64 v[36:37], v58, s[82:83]
	s_cmp_eq_u32 s27, 0
	s_wait_xcnt 0x0
	s_add_nc_u64 s[82:83], s[82:83], 8
	s_wait_loadcnt 0x1
	v_mul_f64_e32 v[38:39], v[34:35], v[32:33]
	v_mul_f64_e32 v[34:35], v[26:27], v[34:35]
	s_wait_loadcnt 0x0
	s_delay_alu instid0(VALU_DEP_2) | instskip(NEXT) | instid1(VALU_DEP_2)
	v_fmac_f64_e32 v[38:39], v[26:27], v[36:37]
	v_fma_f64 v[26:27], v[36:37], v[32:33], -v[34:35]
	global_store_b64 v[28:29], v[38:39], off
	s_wait_xcnt 0x0
	v_mov_b64_e32 v[28:29], v[30:31]
	s_cbranch_scc0 .LBB12_147
	s_branch .LBB12_145
.LBB12_148:                             ;   in Loop: Header=BB12_68 Depth=2
	s_or_b32 exec_lo, exec_lo, s27
                                        ; implicit-def: $vgpr0
	s_and_not1_saveexec_b32 s1, s6
	s_cbranch_execnz .LBB12_140
	s_branch .LBB12_141
.LBB12_149:                             ;   in Loop: Header=BB12_151 Depth=2
	s_or_b32 exec_lo, exec_lo, s3
	s_wait_storecnt 0x0
	s_barrier_signal -1
	s_barrier_wait -1
	ds_load_b32 v34, v58 offset:16
.LBB12_150:                             ;   in Loop: Header=BB12_151 Depth=2
	ds_load_b64 v[40:41], v58 offset:32
	s_wait_dscnt 0x0
	v_cmp_le_i32_e32 vcc_lo, v34, v40
	v_cmp_gt_i32_e64 s3, s26, v41
	s_and_b32 s3, vcc_lo, s3
	s_delay_alu instid0(SALU_CYCLE_1)
	s_and_not1_b32 vcc_lo, exec_lo, s3
	s_cbranch_vccnz .LBB12_50
.LBB12_151:                             ;   Parent Loop BB12_7 Depth=1
                                        ; =>  This Loop Header: Depth=2
                                        ;       Child Loop BB12_157 Depth 3
                                        ;       Child Loop BB12_177 Depth 3
	;; [unrolled: 1-line block ×3, first 2 shown]
                                        ;         Child Loop BB12_229 Depth 4
	s_and_saveexec_b32 s6, s2
	s_cbranch_execz .LBB12_224
; %bb.152:                              ;   in Loop: Header=BB12_151 Depth=2
	v_cmp_lt_i32_e32 vcc_lo, v34, v40
	s_mov_b32 s3, 0
	s_cbranch_vccnz .LBB12_154
; %bb.153:                              ;   in Loop: Header=BB12_151 Depth=2
	v_ashrrev_i32_e32 v35, 31, v34
	s_mov_b32 s27, -1
	s_delay_alu instid0(VALU_DEP_1)
	v_mov_b64_e32 v[38:39], v[34:35]
	v_mov_b32_e32 v0, v34
	s_cbranch_execz .LBB12_155
	s_branch .LBB12_160
.LBB12_154:                             ;   in Loop: Header=BB12_151 Depth=2
	s_mov_b32 s27, 0
                                        ; implicit-def: $vgpr38_vgpr39
	v_mov_b32_e32 v0, v34
.LBB12_155:                             ;   in Loop: Header=BB12_151 Depth=2
	v_dual_mov_b32 v32, v34 :: v_dual_ashrrev_i32 v35, 31, v34
	s_delay_alu instid0(VALU_DEP_1) | instskip(NEXT) | instid1(VALU_DEP_1)
	v_lshlrev_b64_e32 v[0:1], 3, v[34:35]
	v_add_nc_u64_e32 v[2:3], s[44:45], v[0:1]
	v_add_nc_u64_e32 v[0:1], s[52:53], v[0:1]
	s_branch .LBB12_157
.LBB12_156:                             ;   in Loop: Header=BB12_157 Depth=3
	v_add_nc_u32_e32 v32, 1, v27
	v_add_nc_u64_e32 v[2:3], 8, v[30:31]
	v_add_nc_u64_e32 v[0:1], 8, v[0:1]
	s_mov_b32 s3, 0
	s_delay_alu instid0(VALU_DEP_3)
	v_cmp_ge_i32_e64 s27, v32, v40
	s_and_not1_b32 vcc_lo, exec_lo, s27
	s_cbranch_vccz .LBB12_159
.LBB12_157:                             ;   Parent Loop BB12_7 Depth=1
                                        ;     Parent Loop BB12_151 Depth=2
                                        ; =>    This Inner Loop Header: Depth=3
	global_load_b128 v[36:39], v[0:1], off
	v_mov_b64_e32 v[30:31], v[2:3]
	global_load_b64 v[2:3], v[2:3], off
	v_mov_b32_e32 v27, v32
	s_wait_loadcnt 0x1
	v_mul_f64_e32 v[36:37], v[36:37], v[38:39]
	s_wait_loadcnt 0x0
	v_mul_f64_e32 v[2:3], v[2:3], v[2:3]
	s_delay_alu instid0(VALU_DEP_2) | instskip(NEXT) | instid1(VALU_DEP_1)
	v_mul_f64_e64 v[36:37], v[6:7], |v[36:37]|
	v_cmp_le_f64_e64 s3, |v[2:3]|, v[36:37]
	s_and_b32 vcc_lo, exec_lo, s3
	s_cbranch_vccz .LBB12_156
; %bb.158:                              ;   in Loop: Header=BB12_151 Depth=2
	s_mov_b32 s3, -1
                                        ; implicit-def: $vgpr32
                                        ; implicit-def: $vgpr2_vgpr3
                                        ; implicit-def: $vgpr0_vgpr1
.LBB12_159:                             ;   in Loop: Header=BB12_151 Depth=2
	v_mov_b64_e32 v[32:33], v[34:35]
	v_mov_b64_e32 v[38:39], v[34:35]
	v_mov_b32_e32 v0, v40
	s_xor_b32 s27, s3, -1
	s_mov_b32 s3, -1
.LBB12_160:                             ;   in Loop: Header=BB12_151 Depth=2
	s_and_b32 vcc_lo, exec_lo, s27
	s_cbranch_vccnz .LBB12_189
; %bb.161:                              ;   in Loop: Header=BB12_151 Depth=2
	s_and_not1_b32 vcc_lo, exec_lo, s3
	s_cbranch_vccnz .LBB12_163
.LBB12_162:                             ;   in Loop: Header=BB12_151 Depth=2
	v_mov_b64_e32 v[38:39], v[32:33]
	v_mov_b32_e32 v0, v27
	ds_store_2addr_b32 v58, v27, v34 offset0:5 offset1:7
	global_store_b64 v[30:31], v[8:9], off
.LBB12_163:                             ;   in Loop: Header=BB12_151 Depth=2
	v_lshl_add_u64 v[36:37], v[38:39], 3, s[14:15]
	v_add_nc_u32_e32 v1, 1, v34
	s_mov_b32 s3, exec_lo
	global_load_b64 v[46:47], v[36:37], off
	s_wait_loadcnt 0x0
	ds_store_b64 v58, v[46:47]
	s_wait_xcnt 0x0
	v_cmpx_ne_u32_e64 v0, v34
	s_xor_b32 s27, exec_lo, s3
	s_cbranch_execz .LBB12_221
; %bb.164:                              ;   in Loop: Header=BB12_151 Depth=2
	s_mov_b32 s3, exec_lo
	v_cmpx_ne_u32_e64 v0, v1
	s_xor_b32 s3, exec_lo, s3
	s_cbranch_execz .LBB12_193
; %bb.165:                              ;   in Loop: Header=BB12_151 Depth=2
	v_lshl_add_u64 v[2:3], v[38:39], 3, s[44:45]
	s_mov_b32 s33, exec_lo
	global_load_b64 v[38:39], v[36:37], off offset:8
	global_load_b64 v[42:43], v[2:3], off
	global_load_b64 v[44:45], v0, s[14:15] scale_offset
	s_wait_loadcnt 0x2
	v_add_f64_e64 v[38:39], v[38:39], -v[46:47]
	s_wait_loadcnt 0x1
	v_add_f64_e32 v[48:49], v[42:43], v[42:43]
	s_delay_alu instid0(VALU_DEP_1) | instskip(SKIP_1) | instid1(VALU_DEP_2)
	v_div_scale_f64 v[50:51], null, v[48:49], v[48:49], v[38:39]
	v_div_scale_f64 v[56:57], vcc_lo, v[38:39], v[48:49], v[38:39]
	v_rcp_f64_e32 v[52:53], v[50:51]
	v_nop
	s_delay_alu instid0(TRANS32_DEP_1) | instskip(NEXT) | instid1(VALU_DEP_1)
	v_fma_f64 v[54:55], -v[50:51], v[52:53], 1.0
	v_fmac_f64_e32 v[52:53], v[52:53], v[54:55]
	s_delay_alu instid0(VALU_DEP_1) | instskip(NEXT) | instid1(VALU_DEP_1)
	v_fma_f64 v[54:55], -v[50:51], v[52:53], 1.0
	v_fmac_f64_e32 v[52:53], v[52:53], v[54:55]
	s_delay_alu instid0(VALU_DEP_1) | instskip(NEXT) | instid1(VALU_DEP_1)
	v_mul_f64_e32 v[54:55], v[56:57], v[52:53]
	v_fma_f64 v[50:51], -v[50:51], v[54:55], v[56:57]
	s_delay_alu instid0(VALU_DEP_1) | instskip(NEXT) | instid1(VALU_DEP_1)
	v_div_fmas_f64 v[50:51], v[50:51], v[52:53], v[54:55]
	v_div_fixup_f64 v[38:39], v[50:51], v[48:49], v[38:39]
	s_delay_alu instid0(VALU_DEP_1) | instskip(NEXT) | instid1(VALU_DEP_1)
	v_fma_f64 v[48:49], v[38:39], v[38:39], 1.0
	v_cmp_gt_f64_e32 vcc_lo, 0x10000000, v[48:49]
	v_cndmask_b32_e64 v1, 0, 0x100, vcc_lo
	s_delay_alu instid0(VALU_DEP_1) | instskip(SKIP_1) | instid1(VALU_DEP_2)
	v_ldexp_f64 v[48:49], v[48:49], v1
	v_cndmask_b32_e64 v1, 0, 0xffffff80, vcc_lo
	v_rsq_f64_e32 v[50:51], v[48:49]
	v_cmp_class_f64_e64 vcc_lo, v[48:49], 0x260
	s_delay_alu instid0(TRANS32_DEP_1) | instskip(SKIP_1) | instid1(VALU_DEP_1)
	v_mul_f64_e32 v[52:53], v[48:49], v[50:51]
	v_mul_f64_e32 v[50:51], 0.5, v[50:51]
	v_fma_f64 v[54:55], -v[50:51], v[52:53], 0.5
	s_delay_alu instid0(VALU_DEP_1) | instskip(SKIP_1) | instid1(VALU_DEP_2)
	v_fmac_f64_e32 v[52:53], v[52:53], v[54:55]
	v_fmac_f64_e32 v[50:51], v[50:51], v[54:55]
	v_fma_f64 v[54:55], -v[52:53], v[52:53], v[48:49]
	s_delay_alu instid0(VALU_DEP_1) | instskip(NEXT) | instid1(VALU_DEP_1)
	v_fmac_f64_e32 v[52:53], v[54:55], v[50:51]
	v_fma_f64 v[54:55], -v[52:53], v[52:53], v[48:49]
	s_delay_alu instid0(VALU_DEP_1) | instskip(NEXT) | instid1(VALU_DEP_1)
	v_fmac_f64_e32 v[52:53], v[54:55], v[50:51]
	v_ldexp_f64 v[50:51], v[52:53], v1
	s_delay_alu instid0(VALU_DEP_1) | instskip(SKIP_1) | instid1(VALU_DEP_2)
	v_dual_cndmask_b32 v1, v51, v49 :: v_dual_cndmask_b32 v48, v50, v48
	v_cmp_nle_f64_e32 vcc_lo, 0, v[38:39]
	v_and_b32_e32 v35, 0x7fffffff, v1
	v_or_b32_e32 v1, 0x80000000, v1
	s_delay_alu instid0(VALU_DEP_1) | instskip(SKIP_4) | instid1(VALU_DEP_1)
	v_cndmask_b32_e32 v49, v35, v1, vcc_lo
	v_add_nc_u32_e32 v1, 1, v41
	ds_store_b32 v58, v1 offset:36
	ds_store_b64 v58, v[8:9]
	v_add_f64_e32 v[38:39], v[38:39], v[48:49]
	v_div_scale_f64 v[48:49], null, v[38:39], v[38:39], v[42:43]
	s_delay_alu instid0(VALU_DEP_1) | instskip(SKIP_1) | instid1(TRANS32_DEP_1)
	v_rcp_f64_e32 v[50:51], v[48:49]
	v_nop
	v_fma_f64 v[52:53], -v[48:49], v[50:51], 1.0
	s_delay_alu instid0(VALU_DEP_1) | instskip(NEXT) | instid1(VALU_DEP_1)
	v_fmac_f64_e32 v[50:51], v[50:51], v[52:53]
	v_fma_f64 v[52:53], -v[48:49], v[50:51], 1.0
	s_delay_alu instid0(VALU_DEP_1) | instskip(SKIP_1) | instid1(VALU_DEP_1)
	v_fmac_f64_e32 v[50:51], v[50:51], v[52:53]
	v_div_scale_f64 v[52:53], vcc_lo, v[42:43], v[38:39], v[42:43]
	v_mul_f64_e32 v[54:55], v[52:53], v[50:51]
	s_delay_alu instid0(VALU_DEP_1) | instskip(NEXT) | instid1(VALU_DEP_1)
	v_fma_f64 v[48:49], -v[48:49], v[54:55], v[52:53]
	v_div_fmas_f64 v[48:49], v[48:49], v[50:51], v[54:55]
	s_wait_loadcnt 0x0
	v_add_f64_e64 v[50:51], v[44:45], -v[46:47]
	s_delay_alu instid0(VALU_DEP_2) | instskip(SKIP_1) | instid1(VALU_DEP_2)
	v_div_fixup_f64 v[38:39], v[48:49], v[38:39], v[42:43]
	v_mov_b64_e32 v[42:43], 0
	v_add_f64_e32 v[38:39], v[50:51], v[38:39]
	s_wait_xcnt 0x0
	v_cmpx_gt_i32_e64 v0, v34
	s_cbranch_execz .LBB12_192
; %bb.166:                              ;   in Loop: Header=BB12_151 Depth=2
	v_ashrrev_i32_e32 v1, 31, v0
	v_mov_b64_e32 v[50:51], 0
	s_mov_b32 s35, exec_lo
	s_delay_alu instid0(VALU_DEP_2)
	v_lshl_add_u64 v[40:41], v[0:1], 3, s[44:45]
	global_load_b64 v[46:47], v[40:41], off offset:-8
	s_wait_xcnt 0x0
	v_mov_b64_e32 v[40:41], 1.0
	s_wait_loadcnt 0x0
	v_cmpx_neq_f64_e32 0, v[46:47]
	s_cbranch_execz .LBB12_174
; %bb.167:                              ;   in Loop: Header=BB12_151 Depth=2
	v_mov_b64_e32 v[40:41], 0
	v_mov_b64_e32 v[50:51], 1.0
	s_mov_b32 s37, exec_lo
	v_cmpx_neq_f64_e32 0, v[38:39]
	s_cbranch_execz .LBB12_173
; %bb.168:                              ;   in Loop: Header=BB12_151 Depth=2
	v_cmp_ngt_f64_e64 s72, |v[46:47]|, |v[38:39]|
                                        ; implicit-def: $vgpr50_vgpr51
                                        ; implicit-def: $vgpr40_vgpr41
	s_and_saveexec_b32 s74, s72
	s_delay_alu instid0(SALU_CYCLE_1)
	s_xor_b32 s72, exec_lo, s74
	s_cbranch_execz .LBB12_170
; %bb.169:                              ;   in Loop: Header=BB12_151 Depth=2
	v_div_scale_f64 v[40:41], null, v[38:39], v[38:39], -v[46:47]
	v_div_scale_f64 v[50:51], vcc_lo, -v[46:47], v[38:39], -v[46:47]
	s_delay_alu instid0(VALU_DEP_2) | instskip(SKIP_1) | instid1(TRANS32_DEP_1)
	v_rcp_f64_e32 v[42:43], v[40:41]
	v_nop
	v_fma_f64 v[48:49], -v[40:41], v[42:43], 1.0
	s_delay_alu instid0(VALU_DEP_1) | instskip(NEXT) | instid1(VALU_DEP_1)
	v_fmac_f64_e32 v[42:43], v[42:43], v[48:49]
	v_fma_f64 v[48:49], -v[40:41], v[42:43], 1.0
	s_delay_alu instid0(VALU_DEP_1) | instskip(NEXT) | instid1(VALU_DEP_1)
	v_fmac_f64_e32 v[42:43], v[42:43], v[48:49]
	v_mul_f64_e32 v[48:49], v[50:51], v[42:43]
	s_delay_alu instid0(VALU_DEP_1) | instskip(NEXT) | instid1(VALU_DEP_1)
	v_fma_f64 v[40:41], -v[40:41], v[48:49], v[50:51]
	v_div_fmas_f64 v[40:41], v[40:41], v[42:43], v[48:49]
	s_delay_alu instid0(VALU_DEP_1) | instskip(NEXT) | instid1(VALU_DEP_1)
	v_div_fixup_f64 v[38:39], v[40:41], v[38:39], -v[46:47]
	v_fma_f64 v[40:41], v[38:39], v[38:39], 1.0
	s_delay_alu instid0(VALU_DEP_1) | instskip(SKIP_1) | instid1(VALU_DEP_1)
	v_cmp_gt_f64_e32 vcc_lo, 0x10000000, v[40:41]
	v_cndmask_b32_e64 v35, 0, 0x100, vcc_lo
	v_ldexp_f64 v[40:41], v[40:41], v35
	v_cndmask_b32_e64 v35, 0, 0xffffff80, vcc_lo
	s_delay_alu instid0(VALU_DEP_2) | instskip(SKIP_1) | instid1(TRANS32_DEP_1)
	v_rsq_f64_e32 v[42:43], v[40:41]
	v_cmp_class_f64_e64 vcc_lo, v[40:41], 0x260
	v_mul_f64_e32 v[48:49], v[40:41], v[42:43]
	v_mul_f64_e32 v[42:43], 0.5, v[42:43]
	s_delay_alu instid0(VALU_DEP_1) | instskip(NEXT) | instid1(VALU_DEP_1)
	v_fma_f64 v[50:51], -v[42:43], v[48:49], 0.5
	v_fmac_f64_e32 v[48:49], v[48:49], v[50:51]
	v_fmac_f64_e32 v[42:43], v[42:43], v[50:51]
	s_delay_alu instid0(VALU_DEP_2) | instskip(NEXT) | instid1(VALU_DEP_1)
	v_fma_f64 v[50:51], -v[48:49], v[48:49], v[40:41]
	v_fmac_f64_e32 v[48:49], v[50:51], v[42:43]
	s_delay_alu instid0(VALU_DEP_1) | instskip(NEXT) | instid1(VALU_DEP_1)
	v_fma_f64 v[50:51], -v[48:49], v[48:49], v[40:41]
	v_fmac_f64_e32 v[48:49], v[50:51], v[42:43]
	s_delay_alu instid0(VALU_DEP_1) | instskip(NEXT) | instid1(VALU_DEP_1)
	v_ldexp_f64 v[42:43], v[48:49], v35
	v_dual_cndmask_b32 v41, v43, v41 :: v_dual_cndmask_b32 v40, v42, v40
	s_delay_alu instid0(VALU_DEP_1) | instskip(NEXT) | instid1(VALU_DEP_1)
	v_div_scale_f64 v[42:43], null, v[40:41], v[40:41], 1.0
	v_rcp_f64_e32 v[48:49], v[42:43]
	v_nop
	s_delay_alu instid0(TRANS32_DEP_1) | instskip(NEXT) | instid1(VALU_DEP_1)
	v_fma_f64 v[50:51], -v[42:43], v[48:49], 1.0
	v_fmac_f64_e32 v[48:49], v[48:49], v[50:51]
	s_delay_alu instid0(VALU_DEP_1) | instskip(NEXT) | instid1(VALU_DEP_1)
	v_fma_f64 v[50:51], -v[42:43], v[48:49], 1.0
	v_fmac_f64_e32 v[48:49], v[48:49], v[50:51]
	v_div_scale_f64 v[50:51], vcc_lo, 1.0, v[40:41], 1.0
	s_delay_alu instid0(VALU_DEP_1) | instskip(NEXT) | instid1(VALU_DEP_1)
	v_mul_f64_e32 v[52:53], v[50:51], v[48:49]
	v_fma_f64 v[42:43], -v[42:43], v[52:53], v[50:51]
	s_delay_alu instid0(VALU_DEP_1) | instskip(NEXT) | instid1(VALU_DEP_1)
	v_div_fmas_f64 v[42:43], v[42:43], v[48:49], v[52:53]
	v_div_fixup_f64 v[40:41], v[42:43], v[40:41], 1.0
	s_delay_alu instid0(VALU_DEP_1)
	v_mul_f64_e32 v[50:51], v[38:39], v[40:41]
                                        ; implicit-def: $vgpr38_vgpr39
.LBB12_170:                             ;   in Loop: Header=BB12_151 Depth=2
	s_and_not1_saveexec_b32 s72, s72
	s_cbranch_execz .LBB12_172
; %bb.171:                              ;   in Loop: Header=BB12_151 Depth=2
	v_div_scale_f64 v[40:41], null, v[46:47], v[46:47], -v[38:39]
	v_div_scale_f64 v[50:51], vcc_lo, -v[38:39], v[46:47], -v[38:39]
	s_delay_alu instid0(VALU_DEP_2) | instskip(SKIP_1) | instid1(TRANS32_DEP_1)
	v_rcp_f64_e32 v[42:43], v[40:41]
	v_nop
	v_fma_f64 v[48:49], -v[40:41], v[42:43], 1.0
	s_delay_alu instid0(VALU_DEP_1) | instskip(NEXT) | instid1(VALU_DEP_1)
	v_fmac_f64_e32 v[42:43], v[42:43], v[48:49]
	v_fma_f64 v[48:49], -v[40:41], v[42:43], 1.0
	s_delay_alu instid0(VALU_DEP_1) | instskip(NEXT) | instid1(VALU_DEP_1)
	v_fmac_f64_e32 v[42:43], v[42:43], v[48:49]
	v_mul_f64_e32 v[48:49], v[50:51], v[42:43]
	s_delay_alu instid0(VALU_DEP_1) | instskip(NEXT) | instid1(VALU_DEP_1)
	v_fma_f64 v[40:41], -v[40:41], v[48:49], v[50:51]
	v_div_fmas_f64 v[40:41], v[40:41], v[42:43], v[48:49]
	s_delay_alu instid0(VALU_DEP_1) | instskip(NEXT) | instid1(VALU_DEP_1)
	v_div_fixup_f64 v[38:39], v[40:41], v[46:47], -v[38:39]
	v_fma_f64 v[40:41], v[38:39], v[38:39], 1.0
	s_delay_alu instid0(VALU_DEP_1) | instskip(SKIP_1) | instid1(VALU_DEP_1)
	v_cmp_gt_f64_e32 vcc_lo, 0x10000000, v[40:41]
	v_cndmask_b32_e64 v35, 0, 0x100, vcc_lo
	v_ldexp_f64 v[40:41], v[40:41], v35
	v_cndmask_b32_e64 v35, 0, 0xffffff80, vcc_lo
	s_delay_alu instid0(VALU_DEP_2) | instskip(SKIP_1) | instid1(TRANS32_DEP_1)
	v_rsq_f64_e32 v[42:43], v[40:41]
	v_cmp_class_f64_e64 vcc_lo, v[40:41], 0x260
	v_mul_f64_e32 v[48:49], v[40:41], v[42:43]
	v_mul_f64_e32 v[42:43], 0.5, v[42:43]
	s_delay_alu instid0(VALU_DEP_1) | instskip(NEXT) | instid1(VALU_DEP_1)
	v_fma_f64 v[50:51], -v[42:43], v[48:49], 0.5
	v_fmac_f64_e32 v[48:49], v[48:49], v[50:51]
	v_fmac_f64_e32 v[42:43], v[42:43], v[50:51]
	s_delay_alu instid0(VALU_DEP_2) | instskip(NEXT) | instid1(VALU_DEP_1)
	v_fma_f64 v[50:51], -v[48:49], v[48:49], v[40:41]
	v_fmac_f64_e32 v[48:49], v[50:51], v[42:43]
	s_delay_alu instid0(VALU_DEP_1) | instskip(NEXT) | instid1(VALU_DEP_1)
	v_fma_f64 v[50:51], -v[48:49], v[48:49], v[40:41]
	v_fmac_f64_e32 v[48:49], v[50:51], v[42:43]
	s_delay_alu instid0(VALU_DEP_1) | instskip(NEXT) | instid1(VALU_DEP_1)
	v_ldexp_f64 v[42:43], v[48:49], v35
	v_dual_cndmask_b32 v41, v43, v41 :: v_dual_cndmask_b32 v40, v42, v40
	s_delay_alu instid0(VALU_DEP_1) | instskip(NEXT) | instid1(VALU_DEP_1)
	v_div_scale_f64 v[42:43], null, v[40:41], v[40:41], 1.0
	v_rcp_f64_e32 v[48:49], v[42:43]
	v_nop
	s_delay_alu instid0(TRANS32_DEP_1) | instskip(NEXT) | instid1(VALU_DEP_1)
	v_fma_f64 v[50:51], -v[42:43], v[48:49], 1.0
	v_fmac_f64_e32 v[48:49], v[48:49], v[50:51]
	s_delay_alu instid0(VALU_DEP_1) | instskip(NEXT) | instid1(VALU_DEP_1)
	v_fma_f64 v[50:51], -v[42:43], v[48:49], 1.0
	v_fmac_f64_e32 v[48:49], v[48:49], v[50:51]
	v_div_scale_f64 v[50:51], vcc_lo, 1.0, v[40:41], 1.0
	s_delay_alu instid0(VALU_DEP_1) | instskip(NEXT) | instid1(VALU_DEP_1)
	v_mul_f64_e32 v[52:53], v[50:51], v[48:49]
	v_fma_f64 v[42:43], -v[42:43], v[52:53], v[50:51]
	s_delay_alu instid0(VALU_DEP_1) | instskip(NEXT) | instid1(VALU_DEP_1)
	v_div_fmas_f64 v[42:43], v[42:43], v[48:49], v[52:53]
	v_div_fixup_f64 v[50:51], v[42:43], v[40:41], 1.0
	s_delay_alu instid0(VALU_DEP_1)
	v_mul_f64_e32 v[40:41], v[38:39], v[50:51]
.LBB12_172:                             ;   in Loop: Header=BB12_151 Depth=2
	s_or_b32 exec_lo, exec_lo, s72
.LBB12_173:                             ;   in Loop: Header=BB12_151 Depth=2
	s_delay_alu instid0(SALU_CYCLE_1)
	s_or_b32 exec_lo, exec_lo, s37
.LBB12_174:                             ;   in Loop: Header=BB12_151 Depth=2
	s_delay_alu instid0(SALU_CYCLE_1) | instskip(SKIP_1) | instid1(VALU_DEP_2)
	s_or_b32 exec_lo, exec_lo, s35
	v_lshl_add_u64 v[48:49], v[0:1], 3, s[14:15]
	v_add_f64_e32 v[42:43], v[40:41], v[40:41]
	s_mov_b32 s35, exec_lo
	global_load_b64 v[38:39], v[48:49], off offset:-8
	s_wait_loadcnt 0x0
	v_add_f64_e64 v[38:39], v[38:39], -v[44:45]
	s_delay_alu instid0(VALU_DEP_1) | instskip(NEXT) | instid1(VALU_DEP_1)
	v_mul_f64_e32 v[38:39], v[50:51], v[38:39]
	v_fma_f64 v[38:39], v[46:47], v[42:43], -v[38:39]
	s_delay_alu instid0(VALU_DEP_1) | instskip(SKIP_4) | instid1(VALU_DEP_2)
	v_mul_f64_e64 v[42:43], v[38:39], -v[50:51]
	v_fma_f64 v[52:53], v[38:39], -v[50:51], v[44:45]
	v_fma_f64 v[38:39], v[40:41], v[38:39], -v[46:47]
	v_lshl_add_u64 v[46:47], v[0:1], 3, s[48:49]
	v_add_nc_u32_e32 v44, -1, v0
	v_add_nc_u64_e32 v[54:55], -8, v[46:47]
	s_delay_alu instid0(VALU_DEP_1)
	v_lshl_add_u64 v[54:55], s[28:29], 3, v[54:55]
	ds_store_b64 v58, v[42:43]
	global_store_b64 v[48:49], v[52:53], off
	s_clause 0x1
	global_store_b64 v[46:47], v[40:41], off offset:-8
	global_store_b64 v[54:55], v[50:51], off offset:-8
	s_wait_xcnt 0x0
	v_cmpx_gt_i32_e64 v44, v34
	s_cbranch_execz .LBB12_191
; %bb.175:                              ;   in Loop: Header=BB12_151 Depth=2
	v_ashrrev_i32_e32 v45, 31, v44
	v_xor_b32_e32 v51, 0x80000000, v51
	s_mov_b32 s72, -1
	s_mov_b32 s37, 0
	s_mov_b64 s[74:75], s[60:61]
	v_lshlrev_b64_e32 v[44:45], 3, v[44:45]
	s_mov_b64 s[76:77], s[14:15]
	s_mov_b64 s[78:79], s[58:59]
	;; [unrolled: 1-line block ×3, first 2 shown]
	s_branch .LBB12_177
.LBB12_176:                             ;   in Loop: Header=BB12_177 Depth=3
	v_add_nc_u64_e32 v[56:57], s[76:77], v[44:45]
	s_add_co_i32 s72, s72, -1
	v_mul_f64_e32 v[40:41], v[40:41], v[46:47]
	v_add_f64_e32 v[46:47], v[54:55], v[54:55]
	v_add_nc_u64_e32 v[62:63], s[80:81], v[44:45]
	s_add_nc_u64 s[80:81], s[80:81], -8
	s_add_nc_u64 s[76:77], s[76:77], -8
	global_load_b128 v[48:51], v[56:57], off offset:-8
	s_add_nc_u64 s[74:75], s[74:75], -8
	v_add_nc_u32_e32 v1, s72, v0
	s_delay_alu instid0(VALU_DEP_1) | instskip(SKIP_4) | instid1(VALU_DEP_2)
	v_cmp_le_i32_e32 vcc_lo, v1, v34
	s_or_b32 s37, vcc_lo, s37
	s_wait_loadcnt 0x0
	v_dual_add_f64 v[38:39], v[50:51], -v[42:43] :: v_dual_mov_b32 v50, v52
	v_xor_b32_e32 v51, 0x80000000, v53
	v_add_f64_e64 v[42:43], v[48:49], -v[38:39]
	s_delay_alu instid0(VALU_DEP_1) | instskip(NEXT) | instid1(VALU_DEP_1)
	v_mul_f64_e32 v[42:43], v[52:53], v[42:43]
	v_fma_f64 v[46:47], v[40:41], v[46:47], -v[42:43]
	s_delay_alu instid0(VALU_DEP_1)
	v_fma_f64 v[48:49], v[46:47], -v[52:53], v[38:39]
	v_mul_f64_e64 v[42:43], v[46:47], -v[52:53]
	v_fma_f64 v[38:39], v[54:55], v[46:47], -v[40:41]
	v_mov_b64_e32 v[40:41], v[54:55]
	v_add_nc_u64_e32 v[46:47], s[78:79], v[44:45]
	s_add_nc_u64 s[78:79], s[78:79], -8
	global_store_b64 v[56:57], v[48:49], off
	global_store_b64 v[46:47], v[54:55], off
	;; [unrolled: 1-line block ×3, first 2 shown]
	s_wait_xcnt 0x0
	s_and_not1_b32 exec_lo, exec_lo, s37
	s_cbranch_execz .LBB12_190
.LBB12_177:                             ;   Parent Loop BB12_7 Depth=1
                                        ;     Parent Loop BB12_151 Depth=2
                                        ; =>    This Inner Loop Header: Depth=3
	s_delay_alu instid0(VALU_DEP_1)
	v_add_nc_u64_e32 v[48:49], s[74:75], v[44:45]
	v_mov_b64_e32 v[52:53], 0
	v_mov_b64_e32 v[54:55], 1.0
	s_mov_b32 s82, exec_lo
	global_load_b64 v[46:47], v[48:49], off
	s_wait_loadcnt 0x0
	v_mul_f64_e32 v[50:51], v[50:51], v[46:47]
	s_wait_xcnt 0x0
	s_delay_alu instid0(VALU_DEP_1)
	v_cmpx_neq_f64_e32 0, v[50:51]
	s_cbranch_execz .LBB12_187
; %bb.178:                              ;   in Loop: Header=BB12_177 Depth=3
	v_xor_b32_e32 v57, 0x80000000, v51
	v_mov_b32_e32 v56, v50
	s_mov_b32 s83, exec_lo
                                        ; implicit-def: $vgpr52_vgpr53
                                        ; implicit-def: $vgpr54_vgpr55
	v_cmpx_neq_f64_e32 0, v[38:39]
	s_xor_b32 s83, exec_lo, s83
	s_cbranch_execz .LBB12_184
; %bb.179:                              ;   in Loop: Header=BB12_177 Depth=3
	v_cmp_ngt_f64_e64 s84, |v[50:51]|, |v[38:39]|
                                        ; implicit-def: $vgpr52_vgpr53
                                        ; implicit-def: $vgpr54_vgpr55
	s_and_saveexec_b32 s85, s84
	s_delay_alu instid0(SALU_CYCLE_1)
	s_xor_b32 s84, exec_lo, s85
	s_cbranch_execz .LBB12_181
; %bb.180:                              ;   in Loop: Header=BB12_177 Depth=3
	v_div_scale_f64 v[52:53], null, v[38:39], v[38:39], -v[50:51]
	v_div_scale_f64 v[62:63], vcc_lo, -v[50:51], v[38:39], -v[50:51]
	s_delay_alu instid0(VALU_DEP_2) | instskip(SKIP_1) | instid1(TRANS32_DEP_1)
	v_rcp_f64_e32 v[54:55], v[52:53]
	v_nop
	v_fma_f64 v[56:57], -v[52:53], v[54:55], 1.0
	s_delay_alu instid0(VALU_DEP_1) | instskip(NEXT) | instid1(VALU_DEP_1)
	v_fmac_f64_e32 v[54:55], v[54:55], v[56:57]
	v_fma_f64 v[56:57], -v[52:53], v[54:55], 1.0
	s_delay_alu instid0(VALU_DEP_1) | instskip(NEXT) | instid1(VALU_DEP_1)
	v_fmac_f64_e32 v[54:55], v[54:55], v[56:57]
	v_mul_f64_e32 v[56:57], v[62:63], v[54:55]
	s_delay_alu instid0(VALU_DEP_1) | instskip(NEXT) | instid1(VALU_DEP_1)
	v_fma_f64 v[52:53], -v[52:53], v[56:57], v[62:63]
	v_div_fmas_f64 v[52:53], v[52:53], v[54:55], v[56:57]
	s_delay_alu instid0(VALU_DEP_1) | instskip(NEXT) | instid1(VALU_DEP_1)
	v_div_fixup_f64 v[52:53], v[52:53], v[38:39], -v[50:51]
	v_fma_f64 v[54:55], v[52:53], v[52:53], 1.0
	s_delay_alu instid0(VALU_DEP_1) | instskip(SKIP_1) | instid1(VALU_DEP_1)
	v_cmp_gt_f64_e32 vcc_lo, 0x10000000, v[54:55]
	v_cndmask_b32_e64 v1, 0, 0x100, vcc_lo
	v_ldexp_f64 v[54:55], v[54:55], v1
	v_cndmask_b32_e64 v1, 0, 0xffffff80, vcc_lo
	s_delay_alu instid0(VALU_DEP_2) | instskip(SKIP_1) | instid1(TRANS32_DEP_1)
	v_rsq_f64_e32 v[56:57], v[54:55]
	v_cmp_class_f64_e64 vcc_lo, v[54:55], 0x260
	v_mul_f64_e32 v[62:63], v[54:55], v[56:57]
	v_mul_f64_e32 v[56:57], 0.5, v[56:57]
	s_delay_alu instid0(VALU_DEP_1) | instskip(NEXT) | instid1(VALU_DEP_1)
	v_fma_f64 v[64:65], -v[56:57], v[62:63], 0.5
	v_fmac_f64_e32 v[62:63], v[62:63], v[64:65]
	v_fmac_f64_e32 v[56:57], v[56:57], v[64:65]
	s_delay_alu instid0(VALU_DEP_2) | instskip(NEXT) | instid1(VALU_DEP_1)
	v_fma_f64 v[64:65], -v[62:63], v[62:63], v[54:55]
	v_fmac_f64_e32 v[62:63], v[64:65], v[56:57]
	s_delay_alu instid0(VALU_DEP_1) | instskip(NEXT) | instid1(VALU_DEP_1)
	v_fma_f64 v[64:65], -v[62:63], v[62:63], v[54:55]
	v_fmac_f64_e32 v[62:63], v[64:65], v[56:57]
	s_delay_alu instid0(VALU_DEP_1) | instskip(NEXT) | instid1(VALU_DEP_1)
	v_ldexp_f64 v[56:57], v[62:63], v1
	v_dual_cndmask_b32 v55, v57, v55 :: v_dual_cndmask_b32 v54, v56, v54
	s_delay_alu instid0(VALU_DEP_1) | instskip(NEXT) | instid1(VALU_DEP_1)
	v_div_scale_f64 v[56:57], null, v[54:55], v[54:55], 1.0
	v_rcp_f64_e32 v[62:63], v[56:57]
	v_nop
	s_delay_alu instid0(TRANS32_DEP_1) | instskip(NEXT) | instid1(VALU_DEP_1)
	v_fma_f64 v[64:65], -v[56:57], v[62:63], 1.0
	v_fmac_f64_e32 v[62:63], v[62:63], v[64:65]
	s_delay_alu instid0(VALU_DEP_1) | instskip(NEXT) | instid1(VALU_DEP_1)
	v_fma_f64 v[64:65], -v[56:57], v[62:63], 1.0
	v_fmac_f64_e32 v[62:63], v[62:63], v[64:65]
	v_div_scale_f64 v[64:65], vcc_lo, 1.0, v[54:55], 1.0
	s_delay_alu instid0(VALU_DEP_1) | instskip(NEXT) | instid1(VALU_DEP_1)
	v_mul_f64_e32 v[66:67], v[64:65], v[62:63]
	v_fma_f64 v[56:57], -v[56:57], v[66:67], v[64:65]
	s_delay_alu instid0(VALU_DEP_1) | instskip(NEXT) | instid1(VALU_DEP_1)
	v_div_fmas_f64 v[56:57], v[56:57], v[62:63], v[66:67]
	v_div_fixup_f64 v[54:55], v[56:57], v[54:55], 1.0
	s_delay_alu instid0(VALU_DEP_1)
	v_mul_f64_e32 v[52:53], v[52:53], v[54:55]
.LBB12_181:                             ;   in Loop: Header=BB12_177 Depth=3
	s_and_not1_saveexec_b32 s84, s84
	s_cbranch_execz .LBB12_183
; %bb.182:                              ;   in Loop: Header=BB12_177 Depth=3
	v_div_scale_f64 v[52:53], null, v[50:51], v[50:51], -v[38:39]
	v_div_scale_f64 v[62:63], vcc_lo, -v[38:39], v[50:51], -v[38:39]
	s_delay_alu instid0(VALU_DEP_2) | instskip(SKIP_1) | instid1(TRANS32_DEP_1)
	v_rcp_f64_e32 v[54:55], v[52:53]
	v_nop
	v_fma_f64 v[56:57], -v[52:53], v[54:55], 1.0
	s_delay_alu instid0(VALU_DEP_1) | instskip(NEXT) | instid1(VALU_DEP_1)
	v_fmac_f64_e32 v[54:55], v[54:55], v[56:57]
	v_fma_f64 v[56:57], -v[52:53], v[54:55], 1.0
	s_delay_alu instid0(VALU_DEP_1) | instskip(NEXT) | instid1(VALU_DEP_1)
	v_fmac_f64_e32 v[54:55], v[54:55], v[56:57]
	v_mul_f64_e32 v[56:57], v[62:63], v[54:55]
	s_delay_alu instid0(VALU_DEP_1) | instskip(NEXT) | instid1(VALU_DEP_1)
	v_fma_f64 v[52:53], -v[52:53], v[56:57], v[62:63]
	v_div_fmas_f64 v[52:53], v[52:53], v[54:55], v[56:57]
	s_delay_alu instid0(VALU_DEP_1) | instskip(NEXT) | instid1(VALU_DEP_1)
	v_div_fixup_f64 v[54:55], v[52:53], v[50:51], -v[38:39]
	v_fma_f64 v[52:53], v[54:55], v[54:55], 1.0
	s_delay_alu instid0(VALU_DEP_1) | instskip(SKIP_1) | instid1(VALU_DEP_1)
	v_cmp_gt_f64_e32 vcc_lo, 0x10000000, v[52:53]
	v_cndmask_b32_e64 v1, 0, 0x100, vcc_lo
	v_ldexp_f64 v[52:53], v[52:53], v1
	v_cndmask_b32_e64 v1, 0, 0xffffff80, vcc_lo
	s_delay_alu instid0(VALU_DEP_2) | instskip(SKIP_1) | instid1(TRANS32_DEP_1)
	v_rsq_f64_e32 v[56:57], v[52:53]
	v_cmp_class_f64_e64 vcc_lo, v[52:53], 0x260
	v_mul_f64_e32 v[62:63], v[52:53], v[56:57]
	v_mul_f64_e32 v[56:57], 0.5, v[56:57]
	s_delay_alu instid0(VALU_DEP_1) | instskip(NEXT) | instid1(VALU_DEP_1)
	v_fma_f64 v[64:65], -v[56:57], v[62:63], 0.5
	v_fmac_f64_e32 v[62:63], v[62:63], v[64:65]
	v_fmac_f64_e32 v[56:57], v[56:57], v[64:65]
	s_delay_alu instid0(VALU_DEP_2) | instskip(NEXT) | instid1(VALU_DEP_1)
	v_fma_f64 v[64:65], -v[62:63], v[62:63], v[52:53]
	v_fmac_f64_e32 v[62:63], v[64:65], v[56:57]
	s_delay_alu instid0(VALU_DEP_1) | instskip(NEXT) | instid1(VALU_DEP_1)
	v_fma_f64 v[64:65], -v[62:63], v[62:63], v[52:53]
	v_fmac_f64_e32 v[62:63], v[64:65], v[56:57]
	s_delay_alu instid0(VALU_DEP_1) | instskip(NEXT) | instid1(VALU_DEP_1)
	v_ldexp_f64 v[56:57], v[62:63], v1
	v_dual_cndmask_b32 v53, v57, v53 :: v_dual_cndmask_b32 v52, v56, v52
	s_delay_alu instid0(VALU_DEP_1) | instskip(NEXT) | instid1(VALU_DEP_1)
	v_div_scale_f64 v[56:57], null, v[52:53], v[52:53], 1.0
	v_rcp_f64_e32 v[62:63], v[56:57]
	v_nop
	s_delay_alu instid0(TRANS32_DEP_1) | instskip(NEXT) | instid1(VALU_DEP_1)
	v_fma_f64 v[64:65], -v[56:57], v[62:63], 1.0
	v_fmac_f64_e32 v[62:63], v[62:63], v[64:65]
	s_delay_alu instid0(VALU_DEP_1) | instskip(NEXT) | instid1(VALU_DEP_1)
	v_fma_f64 v[64:65], -v[56:57], v[62:63], 1.0
	v_fmac_f64_e32 v[62:63], v[62:63], v[64:65]
	v_div_scale_f64 v[64:65], vcc_lo, 1.0, v[52:53], 1.0
	s_delay_alu instid0(VALU_DEP_1) | instskip(NEXT) | instid1(VALU_DEP_1)
	v_mul_f64_e32 v[66:67], v[64:65], v[62:63]
	v_fma_f64 v[56:57], -v[56:57], v[66:67], v[64:65]
	s_delay_alu instid0(VALU_DEP_1) | instskip(NEXT) | instid1(VALU_DEP_1)
	v_div_fmas_f64 v[56:57], v[56:57], v[62:63], v[66:67]
	v_div_fixup_f64 v[52:53], v[56:57], v[52:53], 1.0
	s_delay_alu instid0(VALU_DEP_1)
	v_mul_f64_e32 v[54:55], v[54:55], v[52:53]
.LBB12_183:                             ;   in Loop: Header=BB12_177 Depth=3
	s_or_b32 exec_lo, exec_lo, s84
	s_delay_alu instid0(VALU_DEP_1) | instskip(NEXT) | instid1(VALU_DEP_1)
	v_mul_f64_e32 v[50:51], v[50:51], v[52:53]
	v_fma_f64 v[56:57], v[38:39], v[54:55], -v[50:51]
.LBB12_184:                             ;   in Loop: Header=BB12_177 Depth=3
	s_and_not1_saveexec_b32 s83, s83
; %bb.185:                              ;   in Loop: Header=BB12_177 Depth=3
	v_mov_b64_e32 v[54:55], 0
	v_mov_b64_e32 v[52:53], 1.0
; %bb.186:                              ;   in Loop: Header=BB12_177 Depth=3
	s_or_b32 exec_lo, exec_lo, s83
	s_delay_alu instid0(VALU_DEP_3)
	v_mov_b64_e32 v[38:39], v[56:57]
.LBB12_187:                             ;   in Loop: Header=BB12_177 Depth=3
	s_or_b32 exec_lo, exec_lo, s82
	s_cmp_eq_u32 s72, 0
	s_cbranch_scc1 .LBB12_176
; %bb.188:                              ;   in Loop: Header=BB12_177 Depth=3
	global_store_b64 v[48:49], v[38:39], off offset:8
	s_branch .LBB12_176
.LBB12_189:                             ;   in Loop: Header=BB12_151 Depth=2
	ds_store_2addr_b32 v58, v0, v34 offset0:5 offset1:7
	s_cbranch_execz .LBB12_162
	s_branch .LBB12_163
.LBB12_190:                             ;   in Loop: Header=BB12_151 Depth=2
	s_or_b32 exec_lo, exec_lo, s37
	ds_store_b64 v58, v[42:43]
.LBB12_191:                             ;   in Loop: Header=BB12_151 Depth=2
	s_or_b32 exec_lo, exec_lo, s35
	global_load_b64 v[46:47], v[36:37], off
.LBB12_192:                             ;   in Loop: Header=BB12_151 Depth=2
	s_wait_xcnt 0x0
	s_or_b32 exec_lo, exec_lo, s33
	s_wait_loadcnt 0x0
	v_add_f64_e64 v[0:1], v[46:47], -v[42:43]
                                        ; implicit-def: $vgpr34
                                        ; implicit-def: $vgpr46_vgpr47
	global_store_b64 v[36:37], v[0:1], off
	global_store_b64 v[2:3], v[38:39], off
                                        ; implicit-def: $vgpr38_vgpr39
                                        ; implicit-def: $vgpr36_vgpr37
.LBB12_193:                             ;   in Loop: Header=BB12_151 Depth=2
	s_wait_xcnt 0x0
	s_and_not1_saveexec_b32 s33, s3
	s_cbranch_execz .LBB12_230
; %bb.194:                              ;   in Loop: Header=BB12_151 Depth=2
	v_lshl_add_u64 v[40:41], v[38:39], 3, s[44:45]
                                        ; implicit-def: $vgpr50_vgpr51
	global_load_b64 v[0:1], v[36:37], off offset:8
	global_load_b64 v[48:49], v[40:41], off
	s_wait_loadcnt 0x1
	v_add_f64_e64 v[44:45], v[46:47], -v[0:1]
	s_wait_loadcnt 0x0
	v_add_f64_e32 v[42:43], v[48:49], v[48:49]
	s_delay_alu instid0(VALU_DEP_1) | instskip(SKIP_2) | instid1(SALU_CYCLE_1)
	v_cmp_ngt_f64_e64 s3, |v[44:45]|, |v[42:43]|
	s_wait_xcnt 0x0
	s_and_saveexec_b32 s35, s3
	s_xor_b32 s3, exec_lo, s35
	s_cbranch_execz .LBB12_200
; %bb.195:                              ;   in Loop: Header=BB12_151 Depth=2
	v_cmp_nlt_f64_e64 s35, |v[44:45]|, |v[42:43]|
                                        ; implicit-def: $vgpr50_vgpr51
	s_and_saveexec_b32 s37, s35
	s_delay_alu instid0(SALU_CYCLE_1)
	s_xor_b32 s35, exec_lo, s37
; %bb.196:                              ;   in Loop: Header=BB12_151 Depth=2
	v_mul_f64_e64 v[50:51], |v[42:43]|, s[64:65]
; %bb.197:                              ;   in Loop: Header=BB12_151 Depth=2
	s_and_not1_saveexec_b32 s35, s35
	s_cbranch_execz .LBB12_199
; %bb.198:                              ;   in Loop: Header=BB12_151 Depth=2
	v_and_b32_e32 v3, 0x7fffffff, v45
	v_dual_mov_b32 v2, v44 :: v_dual_mov_b32 v50, v42
	v_and_b32_e32 v51, 0x7fffffff, v43
	s_delay_alu instid0(VALU_DEP_1) | instskip(SKIP_1) | instid1(VALU_DEP_2)
	v_div_scale_f64 v[52:53], null, v[50:51], v[50:51], v[2:3]
	v_div_scale_f64 v[2:3], vcc_lo, v[2:3], v[50:51], v[2:3]
	v_rcp_f64_e32 v[54:55], v[52:53]
	v_nop
	s_delay_alu instid0(TRANS32_DEP_1) | instskip(NEXT) | instid1(VALU_DEP_1)
	v_fma_f64 v[56:57], -v[52:53], v[54:55], 1.0
	v_fmac_f64_e32 v[54:55], v[54:55], v[56:57]
	s_delay_alu instid0(VALU_DEP_1) | instskip(NEXT) | instid1(VALU_DEP_1)
	v_fma_f64 v[56:57], -v[52:53], v[54:55], 1.0
	v_fmac_f64_e32 v[54:55], v[54:55], v[56:57]
	s_delay_alu instid0(VALU_DEP_1) | instskip(NEXT) | instid1(VALU_DEP_1)
	v_mul_f64_e32 v[50:51], v[2:3], v[54:55]
	v_fma_f64 v[2:3], -v[52:53], v[50:51], v[2:3]
	s_delay_alu instid0(VALU_DEP_1) | instskip(NEXT) | instid1(VALU_DEP_1)
	v_div_fmas_f64 v[2:3], v[2:3], v[54:55], v[50:51]
	v_div_fixup_f64 v[2:3], v[2:3], |v[42:43]|, |v[44:45]|
	s_delay_alu instid0(VALU_DEP_1) | instskip(NEXT) | instid1(VALU_DEP_1)
	v_fma_f64 v[2:3], v[2:3], v[2:3], 1.0
	v_cmp_gt_f64_e32 vcc_lo, 0x10000000, v[2:3]
	v_cndmask_b32_e64 v35, 0, 0x100, vcc_lo
	s_delay_alu instid0(VALU_DEP_1) | instskip(SKIP_1) | instid1(VALU_DEP_2)
	v_ldexp_f64 v[2:3], v[2:3], v35
	v_cndmask_b32_e64 v35, 0, 0xffffff80, vcc_lo
	v_rsq_f64_e32 v[50:51], v[2:3]
	v_cmp_class_f64_e64 vcc_lo, v[2:3], 0x260
	s_delay_alu instid0(TRANS32_DEP_1) | instskip(SKIP_1) | instid1(VALU_DEP_1)
	v_mul_f64_e32 v[52:53], v[2:3], v[50:51]
	v_mul_f64_e32 v[50:51], 0.5, v[50:51]
	v_fma_f64 v[54:55], -v[50:51], v[52:53], 0.5
	s_delay_alu instid0(VALU_DEP_1) | instskip(SKIP_1) | instid1(VALU_DEP_2)
	v_fmac_f64_e32 v[52:53], v[52:53], v[54:55]
	v_fmac_f64_e32 v[50:51], v[50:51], v[54:55]
	v_fma_f64 v[54:55], -v[52:53], v[52:53], v[2:3]
	s_delay_alu instid0(VALU_DEP_1) | instskip(NEXT) | instid1(VALU_DEP_1)
	v_fmac_f64_e32 v[52:53], v[54:55], v[50:51]
	v_fma_f64 v[54:55], -v[52:53], v[52:53], v[2:3]
	s_delay_alu instid0(VALU_DEP_1) | instskip(NEXT) | instid1(VALU_DEP_1)
	v_fmac_f64_e32 v[52:53], v[54:55], v[50:51]
	v_ldexp_f64 v[50:51], v[52:53], v35
	s_delay_alu instid0(VALU_DEP_1) | instskip(NEXT) | instid1(VALU_DEP_1)
	v_dual_cndmask_b32 v3, v51, v3 :: v_dual_cndmask_b32 v2, v50, v2
	v_mul_f64_e64 v[50:51], |v[42:43]|, v[2:3]
.LBB12_199:                             ;   in Loop: Header=BB12_151 Depth=2
	s_or_b32 exec_lo, exec_lo, s35
.LBB12_200:                             ;   in Loop: Header=BB12_151 Depth=2
	s_and_not1_saveexec_b32 s3, s3
	s_cbranch_execz .LBB12_202
; %bb.201:                              ;   in Loop: Header=BB12_151 Depth=2
	v_and_b32_e32 v3, 0x7fffffff, v43
	v_dual_mov_b32 v2, v42 :: v_dual_mov_b32 v50, v44
	v_and_b32_e32 v51, 0x7fffffff, v45
	s_delay_alu instid0(VALU_DEP_1) | instskip(SKIP_1) | instid1(VALU_DEP_2)
	v_div_scale_f64 v[52:53], null, v[50:51], v[50:51], v[2:3]
	v_div_scale_f64 v[2:3], vcc_lo, v[2:3], v[50:51], v[2:3]
	v_rcp_f64_e32 v[54:55], v[52:53]
	v_nop
	s_delay_alu instid0(TRANS32_DEP_1) | instskip(NEXT) | instid1(VALU_DEP_1)
	v_fma_f64 v[56:57], -v[52:53], v[54:55], 1.0
	v_fmac_f64_e32 v[54:55], v[54:55], v[56:57]
	s_delay_alu instid0(VALU_DEP_1) | instskip(NEXT) | instid1(VALU_DEP_1)
	v_fma_f64 v[56:57], -v[52:53], v[54:55], 1.0
	v_fmac_f64_e32 v[54:55], v[54:55], v[56:57]
	s_delay_alu instid0(VALU_DEP_1) | instskip(NEXT) | instid1(VALU_DEP_1)
	v_mul_f64_e32 v[50:51], v[2:3], v[54:55]
	v_fma_f64 v[2:3], -v[52:53], v[50:51], v[2:3]
	s_delay_alu instid0(VALU_DEP_1) | instskip(NEXT) | instid1(VALU_DEP_1)
	v_div_fmas_f64 v[2:3], v[2:3], v[54:55], v[50:51]
	v_div_fixup_f64 v[2:3], v[2:3], |v[44:45]|, |v[42:43]|
	s_delay_alu instid0(VALU_DEP_1) | instskip(NEXT) | instid1(VALU_DEP_1)
	v_fma_f64 v[2:3], v[2:3], v[2:3], 1.0
	v_cmp_gt_f64_e32 vcc_lo, 0x10000000, v[2:3]
	v_cndmask_b32_e64 v35, 0, 0x100, vcc_lo
	s_delay_alu instid0(VALU_DEP_1) | instskip(SKIP_1) | instid1(VALU_DEP_2)
	v_ldexp_f64 v[2:3], v[2:3], v35
	v_cndmask_b32_e64 v35, 0, 0xffffff80, vcc_lo
	v_rsq_f64_e32 v[50:51], v[2:3]
	v_cmp_class_f64_e64 vcc_lo, v[2:3], 0x260
	s_delay_alu instid0(TRANS32_DEP_1) | instskip(SKIP_1) | instid1(VALU_DEP_1)
	v_mul_f64_e32 v[52:53], v[2:3], v[50:51]
	v_mul_f64_e32 v[50:51], 0.5, v[50:51]
	v_fma_f64 v[54:55], -v[50:51], v[52:53], 0.5
	s_delay_alu instid0(VALU_DEP_1) | instskip(SKIP_1) | instid1(VALU_DEP_2)
	v_fmac_f64_e32 v[52:53], v[52:53], v[54:55]
	v_fmac_f64_e32 v[50:51], v[50:51], v[54:55]
	v_fma_f64 v[54:55], -v[52:53], v[52:53], v[2:3]
	s_delay_alu instid0(VALU_DEP_1) | instskip(NEXT) | instid1(VALU_DEP_1)
	v_fmac_f64_e32 v[52:53], v[54:55], v[50:51]
	v_fma_f64 v[54:55], -v[52:53], v[52:53], v[2:3]
	s_delay_alu instid0(VALU_DEP_1) | instskip(NEXT) | instid1(VALU_DEP_1)
	v_fmac_f64_e32 v[52:53], v[54:55], v[50:51]
	v_ldexp_f64 v[50:51], v[52:53], v35
	s_delay_alu instid0(VALU_DEP_1) | instskip(NEXT) | instid1(VALU_DEP_1)
	v_dual_cndmask_b32 v3, v51, v3 :: v_dual_cndmask_b32 v2, v50, v2
	v_mul_f64_e64 v[50:51], |v[44:45]|, v[2:3]
.LBB12_202:                             ;   in Loop: Header=BB12_151 Depth=2
	s_or_b32 exec_lo, exec_lo, s3
	v_cmp_gt_f64_e64 vcc_lo, |v[46:47]|, |v[0:1]|
	v_add_f64_e32 v[54:55], v[46:47], v[0:1]
	s_mov_b32 s35, exec_lo
	v_dual_cndmask_b32 v53, v47, v1 :: v_dual_cndmask_b32 v52, v46, v0
	v_dual_cndmask_b32 v47, v1, v47 :: v_dual_cndmask_b32 v46, v0, v46
                                        ; implicit-def: $vgpr2_vgpr3
	s_delay_alu instid0(VALU_DEP_3)
	v_cmpx_ngt_f64_e32 0, v[54:55]
	s_xor_b32 s35, exec_lo, s35
	s_cbranch_execz .LBB12_208
; %bb.203:                              ;   in Loop: Header=BB12_151 Depth=2
	s_mov_b32 s3, exec_lo
                                        ; implicit-def: $vgpr2_vgpr3
	v_cmpx_nlt_f64_e32 0, v[54:55]
	s_xor_b32 s3, exec_lo, s3
	s_cbranch_execz .LBB12_205
; %bb.204:                              ;   in Loop: Header=BB12_151 Depth=2
	v_mul_f64_e32 v[0:1], 0.5, v[50:51]
	v_mul_f64_e32 v[2:3], -0.5, v[50:51]
                                        ; implicit-def: $vgpr54_vgpr55
                                        ; implicit-def: $vgpr46_vgpr47
                                        ; implicit-def: $vgpr48_vgpr49
                                        ; implicit-def: $vgpr52_vgpr53
.LBB12_205:                             ;   in Loop: Header=BB12_151 Depth=2
	s_and_not1_saveexec_b32 s37, s3
	s_cbranch_execz .LBB12_207
; %bb.206:                              ;   in Loop: Header=BB12_151 Depth=2
	v_add_f64_e32 v[0:1], v[54:55], v[50:51]
	s_delay_alu instid0(VALU_DEP_1) | instskip(NEXT) | instid1(VALU_DEP_1)
	v_mul_f64_e32 v[0:1], 0.5, v[0:1]
	v_div_scale_f64 v[2:3], null, v[0:1], v[0:1], v[46:47]
	v_div_scale_f64 v[54:55], null, v[0:1], v[0:1], v[48:49]
	v_div_scale_f64 v[68:69], vcc_lo, v[46:47], v[0:1], v[46:47]
	s_delay_alu instid0(VALU_DEP_3) | instskip(NEXT) | instid1(VALU_DEP_2)
	v_rcp_f64_e32 v[56:57], v[2:3]
	v_rcp_f64_e32 v[62:63], v[54:55]
	s_delay_alu instid0(TRANS32_DEP_2) | instskip(NEXT) | instid1(TRANS32_DEP_1)
	v_fma_f64 v[64:65], -v[2:3], v[56:57], 1.0
	v_fma_f64 v[66:67], -v[54:55], v[62:63], 1.0
	s_delay_alu instid0(VALU_DEP_2) | instskip(NEXT) | instid1(VALU_DEP_2)
	v_fmac_f64_e32 v[56:57], v[56:57], v[64:65]
	v_fmac_f64_e32 v[62:63], v[62:63], v[66:67]
	s_delay_alu instid0(VALU_DEP_2) | instskip(NEXT) | instid1(VALU_DEP_2)
	v_fma_f64 v[64:65], -v[2:3], v[56:57], 1.0
	v_fma_f64 v[66:67], -v[54:55], v[62:63], 1.0
	s_delay_alu instid0(VALU_DEP_2) | instskip(SKIP_1) | instid1(VALU_DEP_3)
	v_fmac_f64_e32 v[56:57], v[56:57], v[64:65]
	v_div_scale_f64 v[64:65], s3, v[48:49], v[0:1], v[48:49]
	v_fmac_f64_e32 v[62:63], v[62:63], v[66:67]
	s_delay_alu instid0(VALU_DEP_3) | instskip(NEXT) | instid1(VALU_DEP_2)
	v_mul_f64_e32 v[66:67], v[68:69], v[56:57]
	v_mul_f64_e32 v[70:71], v[64:65], v[62:63]
	s_delay_alu instid0(VALU_DEP_2) | instskip(NEXT) | instid1(VALU_DEP_2)
	v_fma_f64 v[2:3], -v[2:3], v[66:67], v[68:69]
	v_fma_f64 v[54:55], -v[54:55], v[70:71], v[64:65]
	s_delay_alu instid0(VALU_DEP_2) | instskip(SKIP_1) | instid1(VALU_DEP_2)
	v_div_fmas_f64 v[2:3], v[2:3], v[56:57], v[66:67]
	s_mov_b32 vcc_lo, s3
	v_div_fmas_f64 v[54:55], v[54:55], v[62:63], v[70:71]
	s_delay_alu instid0(VALU_DEP_2) | instskip(NEXT) | instid1(VALU_DEP_2)
	v_div_fixup_f64 v[2:3], v[2:3], v[0:1], v[46:47]
	v_div_fixup_f64 v[54:55], v[54:55], v[0:1], v[48:49]
	s_delay_alu instid0(VALU_DEP_1) | instskip(NEXT) | instid1(VALU_DEP_1)
	v_mul_f64_e32 v[46:47], v[48:49], v[54:55]
	v_fma_f64 v[2:3], v[52:53], v[2:3], -v[46:47]
.LBB12_207:                             ;   in Loop: Header=BB12_151 Depth=2
	s_or_b32 exec_lo, exec_lo, s37
                                        ; implicit-def: $vgpr54_vgpr55
                                        ; implicit-def: $vgpr46_vgpr47
                                        ; implicit-def: $vgpr48_vgpr49
                                        ; implicit-def: $vgpr52_vgpr53
.LBB12_208:                             ;   in Loop: Header=BB12_151 Depth=2
	s_or_saveexec_b32 s35, s35
	v_mov_b32_e32 v35, 1
	s_xor_b32 exec_lo, exec_lo, s35
	s_cbranch_execz .LBB12_210
; %bb.209:                              ;   in Loop: Header=BB12_151 Depth=2
	v_dual_add_f64 v[0:1], v[54:55], -v[50:51] :: v_dual_mov_b32 v35, -1
	s_delay_alu instid0(VALU_DEP_1) | instskip(NEXT) | instid1(VALU_DEP_1)
	v_mul_f64_e32 v[0:1], 0.5, v[0:1]
	v_div_scale_f64 v[2:3], null, v[0:1], v[0:1], v[46:47]
	v_div_scale_f64 v[54:55], null, v[0:1], v[0:1], v[48:49]
	v_div_scale_f64 v[68:69], vcc_lo, v[46:47], v[0:1], v[46:47]
	s_delay_alu instid0(VALU_DEP_3) | instskip(NEXT) | instid1(VALU_DEP_2)
	v_rcp_f64_e32 v[56:57], v[2:3]
	v_rcp_f64_e32 v[62:63], v[54:55]
	s_delay_alu instid0(TRANS32_DEP_2) | instskip(NEXT) | instid1(TRANS32_DEP_1)
	v_fma_f64 v[64:65], -v[2:3], v[56:57], 1.0
	v_fma_f64 v[66:67], -v[54:55], v[62:63], 1.0
	s_delay_alu instid0(VALU_DEP_2) | instskip(NEXT) | instid1(VALU_DEP_2)
	v_fmac_f64_e32 v[56:57], v[56:57], v[64:65]
	v_fmac_f64_e32 v[62:63], v[62:63], v[66:67]
	s_delay_alu instid0(VALU_DEP_2) | instskip(NEXT) | instid1(VALU_DEP_2)
	v_fma_f64 v[64:65], -v[2:3], v[56:57], 1.0
	v_fma_f64 v[66:67], -v[54:55], v[62:63], 1.0
	s_delay_alu instid0(VALU_DEP_2) | instskip(SKIP_1) | instid1(VALU_DEP_3)
	v_fmac_f64_e32 v[56:57], v[56:57], v[64:65]
	v_div_scale_f64 v[64:65], s3, v[48:49], v[0:1], v[48:49]
	v_fmac_f64_e32 v[62:63], v[62:63], v[66:67]
	s_delay_alu instid0(VALU_DEP_3) | instskip(NEXT) | instid1(VALU_DEP_2)
	v_mul_f64_e32 v[66:67], v[68:69], v[56:57]
	v_mul_f64_e32 v[70:71], v[64:65], v[62:63]
	s_delay_alu instid0(VALU_DEP_2) | instskip(NEXT) | instid1(VALU_DEP_2)
	v_fma_f64 v[2:3], -v[2:3], v[66:67], v[68:69]
	v_fma_f64 v[54:55], -v[54:55], v[70:71], v[64:65]
	s_delay_alu instid0(VALU_DEP_2) | instskip(SKIP_1) | instid1(VALU_DEP_2)
	v_div_fmas_f64 v[2:3], v[2:3], v[56:57], v[66:67]
	s_mov_b32 vcc_lo, s3
	v_div_fmas_f64 v[54:55], v[54:55], v[62:63], v[70:71]
	s_delay_alu instid0(VALU_DEP_2) | instskip(NEXT) | instid1(VALU_DEP_2)
	v_div_fixup_f64 v[2:3], v[2:3], v[0:1], v[46:47]
	v_div_fixup_f64 v[54:55], v[54:55], v[0:1], v[48:49]
	s_delay_alu instid0(VALU_DEP_1) | instskip(NEXT) | instid1(VALU_DEP_1)
	v_mul_f64_e32 v[46:47], v[48:49], v[54:55]
	v_fma_f64 v[2:3], v[52:53], v[2:3], -v[46:47]
.LBB12_210:                             ;   in Loop: Header=BB12_151 Depth=2
	s_or_b32 exec_lo, exec_lo, s35
	s_delay_alu instid0(SALU_CYCLE_1)
	s_mov_b32 s3, exec_lo
                                        ; implicit-def: $vgpr46_vgpr47
	v_cmpx_le_f64_e32 0, v[44:45]
	s_xor_b32 s3, exec_lo, s3
; %bb.211:                              ;   in Loop: Header=BB12_151 Depth=2
	v_add_f64_e32 v[46:47], v[44:45], v[50:51]
                                        ; implicit-def: $vgpr50_vgpr51
                                        ; implicit-def: $vgpr44_vgpr45
; %bb.212:                              ;   in Loop: Header=BB12_151 Depth=2
	s_or_saveexec_b32 s3, s3
	v_mov_b32_e32 v52, 1
	s_xor_b32 exec_lo, exec_lo, s3
; %bb.213:                              ;   in Loop: Header=BB12_151 Depth=2
	v_dual_add_f64 v[46:47], v[44:45], -v[50:51] :: v_dual_mov_b32 v52, -1
; %bb.214:                              ;   in Loop: Header=BB12_151 Depth=2
	s_or_b32 exec_lo, exec_lo, s3
	s_delay_alu instid0(VALU_DEP_1) | instskip(SKIP_1) | instid1(SALU_CYCLE_1)
	v_cmp_ngt_f64_e64 s3, |v[46:47]|, |v[42:43]|
                                        ; implicit-def: $vgpr48_vgpr49
                                        ; implicit-def: $vgpr44_vgpr45
	s_and_saveexec_b32 s35, s3
	s_xor_b32 s3, exec_lo, s35
	s_cbranch_execz .LBB12_218
; %bb.215:                              ;   in Loop: Header=BB12_151 Depth=2
	v_mov_b64_e32 v[44:45], 0
	v_mov_b64_e32 v[48:49], 1.0
	s_mov_b32 s35, exec_lo
	v_cmpx_neq_f64_e32 0, v[42:43]
	s_cbranch_execz .LBB12_217
; %bb.216:                              ;   in Loop: Header=BB12_151 Depth=2
	v_div_scale_f64 v[44:45], null, v[42:43], v[42:43], -v[46:47]
	v_div_scale_f64 v[54:55], vcc_lo, -v[46:47], v[42:43], -v[46:47]
	s_delay_alu instid0(VALU_DEP_2) | instskip(SKIP_1) | instid1(TRANS32_DEP_1)
	v_rcp_f64_e32 v[48:49], v[44:45]
	v_nop
	v_fma_f64 v[50:51], -v[44:45], v[48:49], 1.0
	s_delay_alu instid0(VALU_DEP_1) | instskip(NEXT) | instid1(VALU_DEP_1)
	v_fmac_f64_e32 v[48:49], v[48:49], v[50:51]
	v_fma_f64 v[50:51], -v[44:45], v[48:49], 1.0
	s_delay_alu instid0(VALU_DEP_1) | instskip(NEXT) | instid1(VALU_DEP_1)
	v_fmac_f64_e32 v[48:49], v[48:49], v[50:51]
	v_mul_f64_e32 v[50:51], v[54:55], v[48:49]
	s_delay_alu instid0(VALU_DEP_1) | instskip(NEXT) | instid1(VALU_DEP_1)
	v_fma_f64 v[44:45], -v[44:45], v[50:51], v[54:55]
	v_div_fmas_f64 v[44:45], v[44:45], v[48:49], v[50:51]
	s_delay_alu instid0(VALU_DEP_1) | instskip(NEXT) | instid1(VALU_DEP_1)
	v_div_fixup_f64 v[42:43], v[44:45], v[42:43], -v[46:47]
	v_fma_f64 v[44:45], v[42:43], v[42:43], 1.0
	s_delay_alu instid0(VALU_DEP_1) | instskip(SKIP_1) | instid1(VALU_DEP_1)
	v_cmp_gt_f64_e32 vcc_lo, 0x10000000, v[44:45]
	v_cndmask_b32_e64 v46, 0, 0x100, vcc_lo
	v_ldexp_f64 v[44:45], v[44:45], v46
	s_delay_alu instid0(VALU_DEP_1) | instskip(SKIP_1) | instid1(TRANS32_DEP_1)
	v_rsq_f64_e32 v[46:47], v[44:45]
	v_nop
	v_mul_f64_e32 v[48:49], v[44:45], v[46:47]
	v_mul_f64_e32 v[46:47], 0.5, v[46:47]
	s_delay_alu instid0(VALU_DEP_1) | instskip(NEXT) | instid1(VALU_DEP_1)
	v_fma_f64 v[50:51], -v[46:47], v[48:49], 0.5
	v_fmac_f64_e32 v[48:49], v[48:49], v[50:51]
	v_fmac_f64_e32 v[46:47], v[46:47], v[50:51]
	s_delay_alu instid0(VALU_DEP_2) | instskip(NEXT) | instid1(VALU_DEP_1)
	v_fma_f64 v[50:51], -v[48:49], v[48:49], v[44:45]
	v_fmac_f64_e32 v[48:49], v[50:51], v[46:47]
	s_delay_alu instid0(VALU_DEP_1) | instskip(NEXT) | instid1(VALU_DEP_1)
	v_fma_f64 v[50:51], -v[48:49], v[48:49], v[44:45]
	v_fmac_f64_e32 v[48:49], v[50:51], v[46:47]
	v_cndmask_b32_e64 v46, 0, 0xffffff80, vcc_lo
	v_cmp_class_f64_e64 vcc_lo, v[44:45], 0x260
	s_delay_alu instid0(VALU_DEP_2) | instskip(NEXT) | instid1(VALU_DEP_1)
	v_ldexp_f64 v[46:47], v[48:49], v46
	v_dual_cndmask_b32 v45, v47, v45 :: v_dual_cndmask_b32 v44, v46, v44
	s_delay_alu instid0(VALU_DEP_1) | instskip(NEXT) | instid1(VALU_DEP_1)
	v_div_scale_f64 v[46:47], null, v[44:45], v[44:45], 1.0
	v_rcp_f64_e32 v[48:49], v[46:47]
	v_nop
	s_delay_alu instid0(TRANS32_DEP_1) | instskip(NEXT) | instid1(VALU_DEP_1)
	v_fma_f64 v[50:51], -v[46:47], v[48:49], 1.0
	v_fmac_f64_e32 v[48:49], v[48:49], v[50:51]
	s_delay_alu instid0(VALU_DEP_1) | instskip(NEXT) | instid1(VALU_DEP_1)
	v_fma_f64 v[50:51], -v[46:47], v[48:49], 1.0
	v_fmac_f64_e32 v[48:49], v[48:49], v[50:51]
	v_div_scale_f64 v[50:51], vcc_lo, 1.0, v[44:45], 1.0
	s_delay_alu instid0(VALU_DEP_1) | instskip(NEXT) | instid1(VALU_DEP_1)
	v_mul_f64_e32 v[54:55], v[50:51], v[48:49]
	v_fma_f64 v[46:47], -v[46:47], v[54:55], v[50:51]
	s_delay_alu instid0(VALU_DEP_1) | instskip(NEXT) | instid1(VALU_DEP_1)
	v_div_fmas_f64 v[46:47], v[46:47], v[48:49], v[54:55]
	v_div_fixup_f64 v[48:49], v[46:47], v[44:45], 1.0
	s_delay_alu instid0(VALU_DEP_1)
	v_mul_f64_e32 v[44:45], v[42:43], v[48:49]
.LBB12_217:                             ;   in Loop: Header=BB12_151 Depth=2
	s_or_b32 exec_lo, exec_lo, s35
                                        ; implicit-def: $vgpr46_vgpr47
                                        ; implicit-def: $vgpr42_vgpr43
.LBB12_218:                             ;   in Loop: Header=BB12_151 Depth=2
	s_and_not1_saveexec_b32 s3, s3
	s_cbranch_execz .LBB12_220
; %bb.219:                              ;   in Loop: Header=BB12_151 Depth=2
	v_div_scale_f64 v[44:45], null, v[46:47], v[46:47], -v[42:43]
	v_div_scale_f64 v[54:55], vcc_lo, -v[42:43], v[46:47], -v[42:43]
	s_delay_alu instid0(VALU_DEP_2) | instskip(SKIP_1) | instid1(TRANS32_DEP_1)
	v_rcp_f64_e32 v[48:49], v[44:45]
	v_nop
	v_fma_f64 v[50:51], -v[44:45], v[48:49], 1.0
	s_delay_alu instid0(VALU_DEP_1) | instskip(NEXT) | instid1(VALU_DEP_1)
	v_fmac_f64_e32 v[48:49], v[48:49], v[50:51]
	v_fma_f64 v[50:51], -v[44:45], v[48:49], 1.0
	s_delay_alu instid0(VALU_DEP_1) | instskip(NEXT) | instid1(VALU_DEP_1)
	v_fmac_f64_e32 v[48:49], v[48:49], v[50:51]
	v_mul_f64_e32 v[50:51], v[54:55], v[48:49]
	s_delay_alu instid0(VALU_DEP_1) | instskip(NEXT) | instid1(VALU_DEP_1)
	v_fma_f64 v[44:45], -v[44:45], v[50:51], v[54:55]
	v_div_fmas_f64 v[44:45], v[44:45], v[48:49], v[50:51]
	s_delay_alu instid0(VALU_DEP_1) | instskip(NEXT) | instid1(VALU_DEP_1)
	v_div_fixup_f64 v[42:43], v[44:45], v[46:47], -v[42:43]
	v_fma_f64 v[44:45], v[42:43], v[42:43], 1.0
	s_delay_alu instid0(VALU_DEP_1) | instskip(SKIP_1) | instid1(VALU_DEP_1)
	v_cmp_gt_f64_e32 vcc_lo, 0x10000000, v[44:45]
	v_cndmask_b32_e64 v46, 0, 0x100, vcc_lo
	v_ldexp_f64 v[44:45], v[44:45], v46
	s_delay_alu instid0(VALU_DEP_1) | instskip(SKIP_1) | instid1(TRANS32_DEP_1)
	v_rsq_f64_e32 v[46:47], v[44:45]
	v_nop
	v_mul_f64_e32 v[48:49], v[44:45], v[46:47]
	v_mul_f64_e32 v[46:47], 0.5, v[46:47]
	s_delay_alu instid0(VALU_DEP_1) | instskip(NEXT) | instid1(VALU_DEP_1)
	v_fma_f64 v[50:51], -v[46:47], v[48:49], 0.5
	v_fmac_f64_e32 v[48:49], v[48:49], v[50:51]
	v_fmac_f64_e32 v[46:47], v[46:47], v[50:51]
	s_delay_alu instid0(VALU_DEP_2) | instskip(NEXT) | instid1(VALU_DEP_1)
	v_fma_f64 v[50:51], -v[48:49], v[48:49], v[44:45]
	v_fmac_f64_e32 v[48:49], v[50:51], v[46:47]
	s_delay_alu instid0(VALU_DEP_1) | instskip(NEXT) | instid1(VALU_DEP_1)
	v_fma_f64 v[50:51], -v[48:49], v[48:49], v[44:45]
	v_fmac_f64_e32 v[48:49], v[50:51], v[46:47]
	v_cndmask_b32_e64 v46, 0, 0xffffff80, vcc_lo
	v_cmp_class_f64_e64 vcc_lo, v[44:45], 0x260
	s_delay_alu instid0(VALU_DEP_2) | instskip(NEXT) | instid1(VALU_DEP_1)
	v_ldexp_f64 v[46:47], v[48:49], v46
	v_dual_cndmask_b32 v45, v47, v45 :: v_dual_cndmask_b32 v44, v46, v44
	s_delay_alu instid0(VALU_DEP_1) | instskip(NEXT) | instid1(VALU_DEP_1)
	v_div_scale_f64 v[46:47], null, v[44:45], v[44:45], 1.0
	v_rcp_f64_e32 v[48:49], v[46:47]
	v_nop
	s_delay_alu instid0(TRANS32_DEP_1) | instskip(NEXT) | instid1(VALU_DEP_1)
	v_fma_f64 v[50:51], -v[46:47], v[48:49], 1.0
	v_fmac_f64_e32 v[48:49], v[48:49], v[50:51]
	s_delay_alu instid0(VALU_DEP_1) | instskip(NEXT) | instid1(VALU_DEP_1)
	v_fma_f64 v[50:51], -v[46:47], v[48:49], 1.0
	v_fmac_f64_e32 v[48:49], v[48:49], v[50:51]
	v_div_scale_f64 v[50:51], vcc_lo, 1.0, v[44:45], 1.0
	s_delay_alu instid0(VALU_DEP_1) | instskip(NEXT) | instid1(VALU_DEP_1)
	v_mul_f64_e32 v[54:55], v[50:51], v[48:49]
	v_fma_f64 v[46:47], -v[46:47], v[54:55], v[50:51]
	s_delay_alu instid0(VALU_DEP_1) | instskip(NEXT) | instid1(VALU_DEP_1)
	v_div_fmas_f64 v[46:47], v[46:47], v[48:49], v[54:55]
	v_div_fixup_f64 v[44:45], v[46:47], v[44:45], 1.0
	s_delay_alu instid0(VALU_DEP_1)
	v_mul_f64_e32 v[48:49], v[42:43], v[44:45]
.LBB12_220:                             ;   in Loop: Header=BB12_151 Depth=2
	s_or_b32 exec_lo, exec_lo, s3
	v_cmp_eq_u32_e32 vcc_lo, v35, v52
	s_delay_alu instid0(VALU_DEP_2) | instskip(SKIP_1) | instid1(VALU_DEP_4)
	v_xor_b32_e32 v35, 0x80000000, v45
	v_lshl_add_u64 v[38:39], v[38:39], 3, s[48:49]
	v_dual_cndmask_b32 v43, v45, v49 :: v_dual_add_nc_u32 v34, 2, v34
	s_delay_alu instid0(VALU_DEP_3) | instskip(SKIP_1) | instid1(VALU_DEP_4)
	v_dual_cndmask_b32 v42, v44, v48 :: v_dual_cndmask_b32 v45, v49, v35
	v_cndmask_b32_e32 v44, v48, v44, vcc_lo
	v_lshl_add_u64 v[46:47], s[28:29], 3, v[38:39]
	s_clause 0x1
	global_store_b64 v[38:39], v[44:45], off
	global_store_b64 v[46:47], v[42:43], off offset:-8
	global_store_b128 v[36:37], v[0:3], off
	global_store_b64 v[40:41], v[8:9], off
	ds_store_b32 v58, v34 offset:16
	s_wait_xcnt 0x0
	s_or_b32 exec_lo, exec_lo, s33
                                        ; implicit-def: $vgpr1
.LBB12_221:                             ;   in Loop: Header=BB12_151 Depth=2
	s_and_not1_saveexec_b32 s3, s27
.LBB12_222:                             ;   in Loop: Header=BB12_151 Depth=2
	ds_store_b32 v58, v1 offset:16
.LBB12_223:                             ;   in Loop: Header=BB12_151 Depth=2
	s_or_b32 exec_lo, exec_lo, s3
.LBB12_224:                             ;   in Loop: Header=BB12_151 Depth=2
	s_delay_alu instid0(SALU_CYCLE_1)
	s_or_b32 exec_lo, exec_lo, s6
	s_wait_storecnt_dscnt 0x0
	s_barrier_signal -1
	s_barrier_wait -1
	ds_load_b64 v[0:1], v58 offset:16
	s_wait_dscnt 0x0
	v_readfirstlane_b32 s6, v1
	s_delay_alu instid0(VALU_DEP_1)
	v_cmp_eq_u32_e32 vcc_lo, s6, v0
	v_mov_b32_e32 v34, s6
	s_cbranch_vccnz .LBB12_150
; %bb.225:                              ;   in Loop: Header=BB12_151 Depth=2
	s_and_saveexec_b32 s3, s0
	s_cbranch_execz .LBB12_149
; %bb.226:                              ;   in Loop: Header=BB12_151 Depth=2
	ds_load_b32 v0, v58 offset:28
	s_wait_dscnt 0x0
	v_dual_mov_b32 v34, v4 :: v_dual_ashrrev_i32 v1, 31, v0
	v_readfirstlane_b32 s27, v0
	s_delay_alu instid0(VALU_DEP_2)
	v_lshlrev_b64_e32 v[0:1], 3, v[0:1]
	s_sub_co_i32 s74, s6, s27
	s_mul_i32 s76, s27, s7
	s_ashr_i32 s75, s74, 31
	s_ashr_i32 s77, s76, 31
	s_mul_u64 s[78:79], s[74:75], s[50:51]
	s_lshl_b64 s[76:77], s[76:77], 3
	s_lshl_b64 s[78:79], s[78:79], 3
	s_cmp_gt_i32 s74, 0
	s_mov_b32 s27, 0
	s_cselect_b32 s6, -1, 0
	s_add_co_i32 s72, s74, -1
	s_delay_alu instid0(SALU_CYCLE_1) | instskip(NEXT) | instid1(SALU_CYCLE_1)
	s_lshl_b64 s[80:81], s[72:73], 3
	v_add_nc_u64_e32 v[0:1], s[80:81], v[0:1]
	s_mul_u64 s[80:81], s[66:67], s[72:73]
	s_delay_alu instid0(SALU_CYCLE_1) | instskip(SKIP_3) | instid1(VALU_DEP_2)
	s_add_nc_u64 s[80:81], s[80:81], s[76:77]
	s_add_nc_u64 s[76:77], s[46:47], s[76:77]
	v_add_nc_u64_e32 v[2:3], s[80:81], v[10:11]
	s_add_nc_u64 s[78:79], s[76:77], s[78:79]
	v_add_nc_u64_e32 v[0:1], s[48:49], v[0:1]
	s_branch .LBB12_228
.LBB12_227:                             ;   in Loop: Header=BB12_228 Depth=3
	s_wait_xcnt 0x0
	v_add_nc_u32_e32 v34, s34, v34
	v_add_nc_u64_e32 v[2:3], s[24:25], v[2:3]
	s_wait_loadcnt 0x0
	global_store_b64 v[36:37], v[38:39], off
	v_cmp_le_i32_e32 vcc_lo, s28, v34
	s_or_b32 s27, vcc_lo, s27
	s_wait_xcnt 0x0
	s_and_not1_b32 exec_lo, exec_lo, s27
	s_cbranch_execz .LBB12_149
.LBB12_228:                             ;   Parent Loop BB12_7 Depth=1
                                        ;     Parent Loop BB12_151 Depth=2
                                        ; =>    This Loop Header: Depth=3
                                        ;         Child Loop BB12_229 Depth 4
	global_load_b64 v[38:39], v34, s[78:79] scale_offset
	v_ashrrev_i32_e32 v35, 31, v34
	v_mov_b64_e32 v[40:41], v[2:3]
	v_mov_b64_e32 v[42:43], v[0:1]
	s_and_not1_b32 vcc_lo, exec_lo, s6
	s_mov_b32 s72, s74
	v_lshl_add_u64 v[36:37], v[34:35], 3, s[76:77]
	s_cbranch_vccnz .LBB12_227
.LBB12_229:                             ;   Parent Loop BB12_7 Depth=1
                                        ;     Parent Loop BB12_151 Depth=2
                                        ;       Parent Loop BB12_228 Depth=3
                                        ; =>      This Inner Loop Header: Depth=4
	s_wait_xcnt 0x0
	s_delay_alu instid0(VALU_DEP_2)
	v_add_nc_u64_e32 v[44:45], s[62:63], v[42:43]
	s_wait_loadcnt 0x0
	v_mov_b64_e32 v[50:51], v[38:39]
	s_mul_u64 s[80:81], s[72:73], s[50:51]
	s_add_co_i32 s72, s72, -1
	global_load_b64 v[46:47], v[40:41], off
	s_clause 0x1
	global_load_b64 v[44:45], v[44:45], off
	global_load_b64 v[48:49], v[42:43], off
	s_wait_xcnt 0x0
	v_add_nc_u64_e32 v[42:43], -8, v[42:43]
	v_add_nc_u64_e32 v[40:41], s[68:69], v[40:41]
	s_cmp_eq_u32 s72, 0
	s_wait_loadcnt 0x1
	v_mul_f64_e32 v[52:53], v[44:45], v[46:47]
	s_wait_loadcnt 0x0
	v_mul_f64_e32 v[38:39], v[48:49], v[46:47]
	s_delay_alu instid0(VALU_DEP_2) | instskip(NEXT) | instid1(VALU_DEP_2)
	v_fma_f64 v[46:47], v[50:51], v[48:49], -v[52:53]
	v_fmac_f64_e32 v[38:39], v[50:51], v[44:45]
	v_lshl_add_u64 v[44:45], s[80:81], 3, v[36:37]
	global_store_b64 v[44:45], v[46:47], off
	s_cbranch_scc0 .LBB12_229
	s_branch .LBB12_227
.LBB12_230:                             ;   in Loop: Header=BB12_151 Depth=2
	s_or_b32 exec_lo, exec_lo, s33
                                        ; implicit-def: $vgpr1
	s_and_not1_saveexec_b32 s3, s27
	s_cbranch_execnz .LBB12_222
	s_branch .LBB12_223
.LBB12_231:
	s_mov_b32 s3, exec_lo
	v_cmpx_gt_i32_e64 s36, v4
	s_cbranch_execz .LBB12_237
; %bb.232:
	v_dual_mov_b32 v2, 0 :: v_dual_ashrrev_i32 v5, 31, v4
	s_lshl_b64 s[0:1], s[40:41], 3
	s_lshl_b64 s[20:21], s[38:39], 2
	s_add_nc_u64 s[0:1], s[16:17], s[0:1]
	s_ashr_i32 s35, s34, 31
	v_lshl_add_u64 v[0:1], v[4:5], 3, s[0:1]
	s_add_nc_u64 s[0:1], s[10:11], s[20:21]
	s_lshl_b64 s[10:11], s[34:35], 3
	s_mov_b32 s6, 0
	s_branch .LBB12_234
.LBB12_233:                             ;   in Loop: Header=BB12_234 Depth=1
	s_wait_xcnt 0x0
	s_or_b32 exec_lo, exec_lo, s16
	v_add_nc_u32_e32 v4, s34, v4
	v_add_nc_u64_e32 v[0:1], s[10:11], v[0:1]
	s_delay_alu instid0(VALU_DEP_2) | instskip(SKIP_1) | instid1(SALU_CYCLE_1)
	v_cmp_le_i32_e32 vcc_lo, s36, v4
	s_or_b32 s6, vcc_lo, s6
	s_and_not1_b32 exec_lo, exec_lo, s6
	s_cbranch_execz .LBB12_237
.LBB12_234:                             ; =>This Inner Loop Header: Depth=1
	global_load_b64 v[6:7], v[0:1], off
	s_mov_b32 s16, exec_lo
	s_wait_loadcnt 0x0
	s_wait_xcnt 0x0
	v_cmpx_neq_f64_e32 0, v[6:7]
	s_cbranch_execz .LBB12_233
; %bb.235:                              ;   in Loop: Header=BB12_234 Depth=1
	s_mov_b32 s17, exec_lo
	s_delay_alu instid0(SALU_CYCLE_1) | instskip(NEXT) | instid1(VALU_DEP_1)
	v_mbcnt_lo_u32_b32 v3, s17, 0
	v_cmp_eq_u32_e32 vcc_lo, 0, v3
	s_and_b32 s20, exec_lo, vcc_lo
	s_delay_alu instid0(SALU_CYCLE_1)
	s_mov_b32 exec_lo, s20
	s_cbranch_execz .LBB12_233
; %bb.236:                              ;   in Loop: Header=BB12_234 Depth=1
	s_bcnt1_i32_b32 s17, s17
	s_delay_alu instid0(SALU_CYCLE_1)
	v_mov_b32_e32 v3, s17
	global_atomic_add_u32 v2, v3, s[0:1] scope:SCOPE_DEV
	s_branch .LBB12_233
.LBB12_237:
	s_or_b32 exec_lo, exec_lo, s3
	s_cmp_lt_i32 s28, 2
	s_cbranch_scc1 .LBB12_250
; %bb.238:
	s_lshl_b64 s[0:1], s[8:9], 3
	s_lshl_b64 s[8:9], s[18:19], 3
	v_mov_b32_e32 v6, 0
	s_add_nc_u64 s[10:11], s[12:13], s[30:31]
	s_add_nc_u64 s[8:9], s[0:1], s[8:9]
	;; [unrolled: 1-line block ×4, first 2 shown]
	s_mov_b32 s8, 1
	s_branch .LBB12_240
.LBB12_239:                             ;   in Loop: Header=BB12_240 Depth=1
	s_add_co_i32 s8, s8, 1
	s_add_nc_u64 s[0:1], s[0:1], 8
	s_cmp_lg_u32 s8, s28
	s_wait_storecnt 0x0
	s_barrier_signal -1
	s_barrier_wait -1
	s_cbranch_scc0 .LBB12_250
.LBB12_240:                             ; =>This Loop Header: Depth=1
                                        ;     Child Loop BB12_243 Depth 2
                                        ;     Child Loop BB12_249 Depth 2
	s_and_saveexec_b32 s3, s2
	s_cbranch_execz .LBB12_247
; %bb.241:                              ;   in Loop: Header=BB12_240 Depth=1
	s_add_co_i32 s6, s8, -1
	s_delay_alu instid0(SALU_CYCLE_1)
	v_dual_mov_b32 v0, s8 :: v_dual_mov_b32 v4, s6
	s_ashr_i32 s9, s8, 31
	v_mov_b32_e32 v5, s6
	s_lshl_b64 s[10:11], s[8:9], 3
	global_load_b64 v[0:1], v0, s[14:15] offset:-8 scale_offset
	s_add_nc_u64 s[10:11], s[14:15], s[10:11]
	s_mov_b64 s[12:13], s[0:1]
	s_mov_b32 s16, s6
	s_mov_b32 s9, s8
	s_wait_loadcnt 0x0
	v_mov_b64_e32 v[2:3], v[0:1]
	ds_store_2addr_b64 v6, v[0:1], v[4:5] offset1:2
	s_branch .LBB12_243
.LBB12_242:                             ;   in Loop: Header=BB12_243 Depth=2
	s_add_co_i32 s9, s9, 1
	s_wait_xcnt 0x0
	s_add_nc_u64 s[12:13], s[12:13], 8
	s_cmp_eq_u32 s28, s9
	s_cbranch_scc1 .LBB12_245
.LBB12_243:                             ;   Parent Loop BB12_240 Depth=1
                                        ; =>  This Inner Loop Header: Depth=2
	global_load_b64 v[4:5], v6, s[12:13]
	s_wait_loadcnt 0x0
	v_cmp_nlt_f64_e32 vcc_lo, v[4:5], v[2:3]
	s_cbranch_vccnz .LBB12_242
; %bb.244:                              ;   in Loop: Header=BB12_243 Depth=2
	v_mov_b64_e32 v[2:3], v[4:5]
	v_mov_b32_e32 v7, s9
	s_mov_b32 s16, s9
	ds_store_b32 v6, v7 offset:20
	ds_store_b64 v6, v[4:5]
	s_branch .LBB12_242
.LBB12_245:                             ;   in Loop: Header=BB12_240 Depth=1
	s_cmp_lg_u32 s16, s6
	s_cbranch_scc0 .LBB12_247
; %bb.246:                              ;   in Loop: Header=BB12_240 Depth=1
	v_mov_b32_e32 v4, s16
	s_clause 0x1
	global_store_b64 v4, v[0:1], s[14:15] scale_offset
	global_store_b64 v6, v[2:3], s[10:11] offset:-8
.LBB12_247:                             ;   in Loop: Header=BB12_240 Depth=1
	s_wait_xcnt 0x0
	s_or_b32 exec_lo, exec_lo, s3
	s_wait_storecnt_dscnt 0x0
	s_barrier_signal -1
	s_barrier_wait -1
	ds_load_b64 v[0:1], v6 offset:16
	s_wait_dscnt 0x0
	v_readfirstlane_b32 s3, v0
	v_readfirstlane_b32 s6, v1
	s_cmp_eq_u32 s6, s3
	s_cbranch_scc1 .LBB12_239
; %bb.248:                              ;   in Loop: Header=BB12_240 Depth=1
	s_mul_i32 s10, s6, s7
	s_mul_i32 s12, s3, s7
	s_ashr_i32 s11, s10, 31
	s_ashr_i32 s13, s12, 31
	s_lshl_b64 s[10:11], s[10:11], 3
	s_lshl_b64 s[12:13], s[12:13], 3
	s_add_nc_u64 s[10:11], s[4:5], s[10:11]
	s_add_nc_u64 s[12:13], s[4:5], s[12:13]
	s_mov_b32 s3, s28
.LBB12_249:                             ;   Parent Loop BB12_240 Depth=1
                                        ; =>  This Inner Loop Header: Depth=2
	s_clause 0x1
	global_load_b64 v[0:1], v6, s[10:11]
	global_load_b64 v[2:3], v6, s[12:13]
	s_add_co_i32 s3, s3, -1
	s_wait_loadcnt 0x1
	global_store_b64 v6, v[0:1], s[12:13]
	s_wait_loadcnt 0x0
	global_store_b64 v6, v[2:3], s[10:11]
	s_cmp_lg_u32 s3, 0
	s_wait_xcnt 0x0
	s_add_nc_u64 s[10:11], s[10:11], 8
	s_add_nc_u64 s[12:13], s[12:13], 8
	s_cbranch_scc1 .LBB12_249
	s_branch .LBB12_239
.LBB12_250:
	s_sendmsg sendmsg(MSG_DEALLOC_VGPRS)
	s_endpgm
	.section	.rodata,"a",@progbits
	.p2align	6, 0x0
	.amdhsa_kernel _ZN9rocsolver6v33100L12steqr_kernelIddPdEEviPT0_lS4_lT1_iilPiS4_iS3_S3_S3_
		.amdhsa_group_segment_fixed_size 48
		.amdhsa_private_segment_fixed_size 0
		.amdhsa_kernarg_size 368
		.amdhsa_user_sgpr_count 2
		.amdhsa_user_sgpr_dispatch_ptr 0
		.amdhsa_user_sgpr_queue_ptr 0
		.amdhsa_user_sgpr_kernarg_segment_ptr 1
		.amdhsa_user_sgpr_dispatch_id 0
		.amdhsa_user_sgpr_kernarg_preload_length 0
		.amdhsa_user_sgpr_kernarg_preload_offset 0
		.amdhsa_user_sgpr_private_segment_size 0
		.amdhsa_wavefront_size32 1
		.amdhsa_uses_dynamic_stack 0
		.amdhsa_enable_private_segment 0
		.amdhsa_system_sgpr_workgroup_id_x 1
		.amdhsa_system_sgpr_workgroup_id_y 1
		.amdhsa_system_sgpr_workgroup_id_z 0
		.amdhsa_system_sgpr_workgroup_info 0
		.amdhsa_system_vgpr_workitem_id 0
		.amdhsa_next_free_vgpr 72
		.amdhsa_next_free_sgpr 86
		.amdhsa_named_barrier_count 0
		.amdhsa_reserve_vcc 1
		.amdhsa_float_round_mode_32 0
		.amdhsa_float_round_mode_16_64 0
		.amdhsa_float_denorm_mode_32 3
		.amdhsa_float_denorm_mode_16_64 3
		.amdhsa_fp16_overflow 0
		.amdhsa_memory_ordered 1
		.amdhsa_forward_progress 1
		.amdhsa_inst_pref_size 119
		.amdhsa_round_robin_scheduling 0
		.amdhsa_exception_fp_ieee_invalid_op 0
		.amdhsa_exception_fp_denorm_src 0
		.amdhsa_exception_fp_ieee_div_zero 0
		.amdhsa_exception_fp_ieee_overflow 0
		.amdhsa_exception_fp_ieee_underflow 0
		.amdhsa_exception_fp_ieee_inexact 0
		.amdhsa_exception_int_div_zero 0
	.end_amdhsa_kernel
	.section	.text._ZN9rocsolver6v33100L12steqr_kernelIddPdEEviPT0_lS4_lT1_iilPiS4_iS3_S3_S3_,"axG",@progbits,_ZN9rocsolver6v33100L12steqr_kernelIddPdEEviPT0_lS4_lT1_iilPiS4_iS3_S3_S3_,comdat
.Lfunc_end12:
	.size	_ZN9rocsolver6v33100L12steqr_kernelIddPdEEviPT0_lS4_lT1_iilPiS4_iS3_S3_S3_, .Lfunc_end12-_ZN9rocsolver6v33100L12steqr_kernelIddPdEEviPT0_lS4_lT1_iilPiS4_iS3_S3_S3_
                                        ; -- End function
	.set _ZN9rocsolver6v33100L12steqr_kernelIddPdEEviPT0_lS4_lT1_iilPiS4_iS3_S3_S3_.num_vgpr, 72
	.set _ZN9rocsolver6v33100L12steqr_kernelIddPdEEviPT0_lS4_lT1_iilPiS4_iS3_S3_S3_.num_agpr, 0
	.set _ZN9rocsolver6v33100L12steqr_kernelIddPdEEviPT0_lS4_lT1_iilPiS4_iS3_S3_S3_.numbered_sgpr, 86
	.set _ZN9rocsolver6v33100L12steqr_kernelIddPdEEviPT0_lS4_lT1_iilPiS4_iS3_S3_S3_.num_named_barrier, 0
	.set _ZN9rocsolver6v33100L12steqr_kernelIddPdEEviPT0_lS4_lT1_iilPiS4_iS3_S3_S3_.private_seg_size, 0
	.set _ZN9rocsolver6v33100L12steqr_kernelIddPdEEviPT0_lS4_lT1_iilPiS4_iS3_S3_S3_.uses_vcc, 1
	.set _ZN9rocsolver6v33100L12steqr_kernelIddPdEEviPT0_lS4_lT1_iilPiS4_iS3_S3_S3_.uses_flat_scratch, 0
	.set _ZN9rocsolver6v33100L12steqr_kernelIddPdEEviPT0_lS4_lT1_iilPiS4_iS3_S3_S3_.has_dyn_sized_stack, 0
	.set _ZN9rocsolver6v33100L12steqr_kernelIddPdEEviPT0_lS4_lT1_iilPiS4_iS3_S3_S3_.has_recursion, 0
	.set _ZN9rocsolver6v33100L12steqr_kernelIddPdEEviPT0_lS4_lT1_iilPiS4_iS3_S3_S3_.has_indirect_call, 0
	.section	.AMDGPU.csdata,"",@progbits
; Kernel info:
; codeLenInByte = 15200
; TotalNumSgprs: 88
; NumVgprs: 72
; ScratchSize: 0
; MemoryBound: 0
; FloatMode: 240
; IeeeMode: 1
; LDSByteSize: 48 bytes/workgroup (compile time only)
; SGPRBlocks: 0
; VGPRBlocks: 4
; NumSGPRsForWavesPerEU: 88
; NumVGPRsForWavesPerEU: 72
; NamedBarCnt: 0
; Occupancy: 12
; WaveLimiterHint : 0
; COMPUTE_PGM_RSRC2:SCRATCH_EN: 0
; COMPUTE_PGM_RSRC2:USER_SGPR: 2
; COMPUTE_PGM_RSRC2:TRAP_HANDLER: 0
; COMPUTE_PGM_RSRC2:TGID_X_EN: 1
; COMPUTE_PGM_RSRC2:TGID_Y_EN: 1
; COMPUTE_PGM_RSRC2:TGID_Z_EN: 0
; COMPUTE_PGM_RSRC2:TIDIG_COMP_CNT: 0
	.section	.text._ZN9rocsolver6v33100L16reset_batch_infoI19rocblas_complex_numIfEiiPS3_EEvT2_lT0_T1_,"axG",@progbits,_ZN9rocsolver6v33100L16reset_batch_infoI19rocblas_complex_numIfEiiPS3_EEvT2_lT0_T1_,comdat
	.globl	_ZN9rocsolver6v33100L16reset_batch_infoI19rocblas_complex_numIfEiiPS3_EEvT2_lT0_T1_ ; -- Begin function _ZN9rocsolver6v33100L16reset_batch_infoI19rocblas_complex_numIfEiiPS3_EEvT2_lT0_T1_
	.p2align	8
	.type	_ZN9rocsolver6v33100L16reset_batch_infoI19rocblas_complex_numIfEiiPS3_EEvT2_lT0_T1_,@function
_ZN9rocsolver6v33100L16reset_batch_infoI19rocblas_complex_numIfEiiPS3_EEvT2_lT0_T1_: ; @_ZN9rocsolver6v33100L16reset_batch_infoI19rocblas_complex_numIfEiiPS3_EEvT2_lT0_T1_
; %bb.0:
	s_clause 0x1
	s_load_b32 s5, s[0:1], 0x24
	s_load_b64 s[2:3], s[0:1], 0x10
	s_bfe_u32 s4, ttmp6, 0x4000c
	s_and_b32 s6, ttmp6, 15
	s_add_co_i32 s7, s4, 1
	s_getreg_b32 s4, hwreg(HW_REG_IB_STS2, 6, 4)
	s_mul_i32 s7, ttmp9, s7
	s_delay_alu instid0(SALU_CYCLE_1) | instskip(SKIP_4) | instid1(SALU_CYCLE_1)
	s_add_co_i32 s6, s6, s7
	s_wait_kmcnt 0x0
	s_and_b32 s5, s5, 0xffff
	s_cmp_eq_u32 s4, 0
	s_cselect_b32 s6, ttmp9, s6
	v_mad_u32 v0, s6, s5, v0
	s_delay_alu instid0(VALU_DEP_1)
	v_cmp_gt_i32_e32 vcc_lo, s2, v0
	s_and_saveexec_b32 s2, vcc_lo
	s_cbranch_execz .LBB13_2
; %bb.1:
	s_load_b128 s[8:11], s[0:1], 0x0
	s_wait_xcnt 0x0
	s_bfe_u32 s0, ttmp6, 0x40010
	s_bfe_u32 s1, ttmp6, 0x40004
	s_add_co_i32 s0, s0, 1
	s_cvt_f32_i32 s2, s3
	s_mul_i32 s0, ttmp7, s0
	v_mov_b32_e32 v3, 0
	s_add_co_i32 s1, s1, s0
	s_cmp_eq_u32 s4, 0
	v_mov_b32_e32 v2, s2
	s_cselect_b32 s0, ttmp7, s1
	s_delay_alu instid0(SALU_CYCLE_1) | instskip(SKIP_2) | instid1(SALU_CYCLE_1)
	s_ashr_i32 s1, s0, 31
	s_wait_kmcnt 0x0
	s_mul_u64 s[0:1], s[10:11], s[0:1]
	s_lshl_b64 s[0:1], s[0:1], 3
	s_delay_alu instid0(SALU_CYCLE_1)
	s_add_nc_u64 s[0:1], s[8:9], s[0:1]
	global_store_b64 v0, v[2:3], s[0:1] scale_offset
.LBB13_2:
	s_endpgm
	.section	.rodata,"a",@progbits
	.p2align	6, 0x0
	.amdhsa_kernel _ZN9rocsolver6v33100L16reset_batch_infoI19rocblas_complex_numIfEiiPS3_EEvT2_lT0_T1_
		.amdhsa_group_segment_fixed_size 0
		.amdhsa_private_segment_fixed_size 0
		.amdhsa_kernarg_size 280
		.amdhsa_user_sgpr_count 2
		.amdhsa_user_sgpr_dispatch_ptr 0
		.amdhsa_user_sgpr_queue_ptr 0
		.amdhsa_user_sgpr_kernarg_segment_ptr 1
		.amdhsa_user_sgpr_dispatch_id 0
		.amdhsa_user_sgpr_kernarg_preload_length 0
		.amdhsa_user_sgpr_kernarg_preload_offset 0
		.amdhsa_user_sgpr_private_segment_size 0
		.amdhsa_wavefront_size32 1
		.amdhsa_uses_dynamic_stack 0
		.amdhsa_enable_private_segment 0
		.amdhsa_system_sgpr_workgroup_id_x 1
		.amdhsa_system_sgpr_workgroup_id_y 1
		.amdhsa_system_sgpr_workgroup_id_z 0
		.amdhsa_system_sgpr_workgroup_info 0
		.amdhsa_system_vgpr_workitem_id 0
		.amdhsa_next_free_vgpr 4
		.amdhsa_next_free_sgpr 12
		.amdhsa_named_barrier_count 0
		.amdhsa_reserve_vcc 1
		.amdhsa_float_round_mode_32 0
		.amdhsa_float_round_mode_16_64 0
		.amdhsa_float_denorm_mode_32 3
		.amdhsa_float_denorm_mode_16_64 3
		.amdhsa_fp16_overflow 0
		.amdhsa_memory_ordered 1
		.amdhsa_forward_progress 1
		.amdhsa_inst_pref_size 2
		.amdhsa_round_robin_scheduling 0
		.amdhsa_exception_fp_ieee_invalid_op 0
		.amdhsa_exception_fp_denorm_src 0
		.amdhsa_exception_fp_ieee_div_zero 0
		.amdhsa_exception_fp_ieee_overflow 0
		.amdhsa_exception_fp_ieee_underflow 0
		.amdhsa_exception_fp_ieee_inexact 0
		.amdhsa_exception_int_div_zero 0
	.end_amdhsa_kernel
	.section	.text._ZN9rocsolver6v33100L16reset_batch_infoI19rocblas_complex_numIfEiiPS3_EEvT2_lT0_T1_,"axG",@progbits,_ZN9rocsolver6v33100L16reset_batch_infoI19rocblas_complex_numIfEiiPS3_EEvT2_lT0_T1_,comdat
.Lfunc_end13:
	.size	_ZN9rocsolver6v33100L16reset_batch_infoI19rocblas_complex_numIfEiiPS3_EEvT2_lT0_T1_, .Lfunc_end13-_ZN9rocsolver6v33100L16reset_batch_infoI19rocblas_complex_numIfEiiPS3_EEvT2_lT0_T1_
                                        ; -- End function
	.set _ZN9rocsolver6v33100L16reset_batch_infoI19rocblas_complex_numIfEiiPS3_EEvT2_lT0_T1_.num_vgpr, 4
	.set _ZN9rocsolver6v33100L16reset_batch_infoI19rocblas_complex_numIfEiiPS3_EEvT2_lT0_T1_.num_agpr, 0
	.set _ZN9rocsolver6v33100L16reset_batch_infoI19rocblas_complex_numIfEiiPS3_EEvT2_lT0_T1_.numbered_sgpr, 12
	.set _ZN9rocsolver6v33100L16reset_batch_infoI19rocblas_complex_numIfEiiPS3_EEvT2_lT0_T1_.num_named_barrier, 0
	.set _ZN9rocsolver6v33100L16reset_batch_infoI19rocblas_complex_numIfEiiPS3_EEvT2_lT0_T1_.private_seg_size, 0
	.set _ZN9rocsolver6v33100L16reset_batch_infoI19rocblas_complex_numIfEiiPS3_EEvT2_lT0_T1_.uses_vcc, 1
	.set _ZN9rocsolver6v33100L16reset_batch_infoI19rocblas_complex_numIfEiiPS3_EEvT2_lT0_T1_.uses_flat_scratch, 0
	.set _ZN9rocsolver6v33100L16reset_batch_infoI19rocblas_complex_numIfEiiPS3_EEvT2_lT0_T1_.has_dyn_sized_stack, 0
	.set _ZN9rocsolver6v33100L16reset_batch_infoI19rocblas_complex_numIfEiiPS3_EEvT2_lT0_T1_.has_recursion, 0
	.set _ZN9rocsolver6v33100L16reset_batch_infoI19rocblas_complex_numIfEiiPS3_EEvT2_lT0_T1_.has_indirect_call, 0
	.section	.AMDGPU.csdata,"",@progbits
; Kernel info:
; codeLenInByte = 200
; TotalNumSgprs: 14
; NumVgprs: 4
; ScratchSize: 0
; MemoryBound: 0
; FloatMode: 240
; IeeeMode: 1
; LDSByteSize: 0 bytes/workgroup (compile time only)
; SGPRBlocks: 0
; VGPRBlocks: 0
; NumSGPRsForWavesPerEU: 14
; NumVGPRsForWavesPerEU: 4
; NamedBarCnt: 0
; Occupancy: 16
; WaveLimiterHint : 0
; COMPUTE_PGM_RSRC2:SCRATCH_EN: 0
; COMPUTE_PGM_RSRC2:USER_SGPR: 2
; COMPUTE_PGM_RSRC2:TRAP_HANDLER: 0
; COMPUTE_PGM_RSRC2:TGID_X_EN: 1
; COMPUTE_PGM_RSRC2:TGID_Y_EN: 1
; COMPUTE_PGM_RSRC2:TGID_Z_EN: 0
; COMPUTE_PGM_RSRC2:TIDIG_COMP_CNT: 0
	.section	.text._ZN9rocsolver6v33100L10init_identI19rocblas_complex_numIfEPS3_EEviiT0_iil,"axG",@progbits,_ZN9rocsolver6v33100L10init_identI19rocblas_complex_numIfEPS3_EEviiT0_iil,comdat
	.globl	_ZN9rocsolver6v33100L10init_identI19rocblas_complex_numIfEPS3_EEviiT0_iil ; -- Begin function _ZN9rocsolver6v33100L10init_identI19rocblas_complex_numIfEPS3_EEviiT0_iil
	.p2align	8
	.type	_ZN9rocsolver6v33100L10init_identI19rocblas_complex_numIfEPS3_EEviiT0_iil,@function
_ZN9rocsolver6v33100L10init_identI19rocblas_complex_numIfEPS3_EEviiT0_iil: ; @_ZN9rocsolver6v33100L10init_identI19rocblas_complex_numIfEPS3_EEviiT0_iil
; %bb.0:
	s_clause 0x1
	s_load_b32 s5, s[0:1], 0x2c
	s_load_b64 s[2:3], s[0:1], 0x0
	s_bfe_u32 s7, ttmp6, 0x40010
	s_bfe_u32 s10, ttmp6, 0x4000c
	s_and_b32 s6, ttmp7, 0xffff
	s_add_co_i32 s7, s7, 1
	s_add_co_i32 s10, s10, 1
	s_bfe_u32 s8, ttmp6, 0x40004
	s_and_b32 s9, ttmp6, 15
	s_mul_i32 s7, s6, s7
	s_mul_i32 s10, ttmp9, s10
	s_getreg_b32 s4, hwreg(HW_REG_IB_STS2, 6, 4)
	v_and_b32_e32 v1, 0x3ff, v0
	v_bfe_u32 v0, v0, 10, 10
	s_add_co_i32 s8, s8, s7
	s_add_co_i32 s9, s9, s10
	s_wait_kmcnt 0x0
	s_lshr_b32 s7, s5, 16
	s_and_b32 s5, s5, 0xffff
	s_cmp_eq_u32 s4, 0
	s_cselect_b32 s9, ttmp9, s9
	s_cselect_b32 s6, s6, s8
	v_mad_u32 v3, s9, s5, v1
	v_mad_u32 v0, s6, s7, v0
	s_delay_alu instid0(VALU_DEP_2) | instskip(NEXT) | instid1(VALU_DEP_2)
	v_cmp_gt_u32_e32 vcc_lo, s2, v3
	v_cmp_gt_u32_e64 s2, s3, v0
	s_and_b32 s2, vcc_lo, s2
	s_delay_alu instid0(SALU_CYCLE_1)
	s_and_saveexec_b32 s3, s2
	s_cbranch_execz .LBB14_6
; %bb.1:
	s_load_b64 s[2:3], s[0:1], 0x10
	s_mov_b32 s5, exec_lo
                                        ; implicit-def: $vgpr2
	v_cmpx_ne_u32_e64 v3, v0
	s_xor_b32 s5, exec_lo, s5
	s_cbranch_execz .LBB14_3
; %bb.2:
	s_wait_kmcnt 0x0
	v_mad_u32 v2, v0, s3, v3
                                        ; implicit-def: $vgpr3
.LBB14_3:
	s_or_saveexec_b32 s5, s5
	v_dual_mov_b32 v1, 0 :: v_dual_mov_b32 v0, 0
	s_xor_b32 exec_lo, exec_lo, s5
	s_cbranch_execz .LBB14_5
; %bb.4:
	s_wait_kmcnt 0x0
	v_mad_u32 v2, v3, s3, v3
	v_mov_b32_e32 v0, 1.0
.LBB14_5:
	s_or_b32 exec_lo, exec_lo, s5
	s_clause 0x1
	s_load_b64 s[6:7], s[0:1], 0x18
	s_load_b64 s[8:9], s[0:1], 0x8
	s_wait_xcnt 0x0
	s_bfe_u32 s0, ttmp6, 0x40014
	s_lshr_b32 s5, ttmp7, 16
	s_add_co_i32 s0, s0, 1
	s_bfe_u32 s1, ttmp6, 0x40008
	s_mul_i32 s0, s5, s0
	s_wait_kmcnt 0x0
	s_ashr_i32 s3, s2, 31
	s_add_co_i32 s0, s1, s0
	s_cmp_eq_u32 s4, 0
	s_mov_b32 s1, 0
	s_cselect_b32 s0, s5, s0
	s_lshl_b64 s[2:3], s[2:3], 3
	s_mul_u64 s[0:1], s[6:7], s[0:1]
	s_delay_alu instid0(SALU_CYCLE_1) | instskip(NEXT) | instid1(SALU_CYCLE_1)
	s_lshl_b64 s[0:1], s[0:1], 3
	s_add_nc_u64 s[0:1], s[8:9], s[0:1]
	s_delay_alu instid0(SALU_CYCLE_1)
	s_add_nc_u64 s[0:1], s[0:1], s[2:3]
	global_store_b64 v2, v[0:1], s[0:1] scale_offset
.LBB14_6:
	s_endpgm
	.section	.rodata,"a",@progbits
	.p2align	6, 0x0
	.amdhsa_kernel _ZN9rocsolver6v33100L10init_identI19rocblas_complex_numIfEPS3_EEviiT0_iil
		.amdhsa_group_segment_fixed_size 0
		.amdhsa_private_segment_fixed_size 0
		.amdhsa_kernarg_size 288
		.amdhsa_user_sgpr_count 2
		.amdhsa_user_sgpr_dispatch_ptr 0
		.amdhsa_user_sgpr_queue_ptr 0
		.amdhsa_user_sgpr_kernarg_segment_ptr 1
		.amdhsa_user_sgpr_dispatch_id 0
		.amdhsa_user_sgpr_kernarg_preload_length 0
		.amdhsa_user_sgpr_kernarg_preload_offset 0
		.amdhsa_user_sgpr_private_segment_size 0
		.amdhsa_wavefront_size32 1
		.amdhsa_uses_dynamic_stack 0
		.amdhsa_enable_private_segment 0
		.amdhsa_system_sgpr_workgroup_id_x 1
		.amdhsa_system_sgpr_workgroup_id_y 1
		.amdhsa_system_sgpr_workgroup_id_z 1
		.amdhsa_system_sgpr_workgroup_info 0
		.amdhsa_system_vgpr_workitem_id 1
		.amdhsa_next_free_vgpr 4
		.amdhsa_next_free_sgpr 11
		.amdhsa_named_barrier_count 0
		.amdhsa_reserve_vcc 1
		.amdhsa_float_round_mode_32 0
		.amdhsa_float_round_mode_16_64 0
		.amdhsa_float_denorm_mode_32 3
		.amdhsa_float_denorm_mode_16_64 3
		.amdhsa_fp16_overflow 0
		.amdhsa_memory_ordered 1
		.amdhsa_forward_progress 1
		.amdhsa_inst_pref_size 3
		.amdhsa_round_robin_scheduling 0
		.amdhsa_exception_fp_ieee_invalid_op 0
		.amdhsa_exception_fp_denorm_src 0
		.amdhsa_exception_fp_ieee_div_zero 0
		.amdhsa_exception_fp_ieee_overflow 0
		.amdhsa_exception_fp_ieee_underflow 0
		.amdhsa_exception_fp_ieee_inexact 0
		.amdhsa_exception_int_div_zero 0
	.end_amdhsa_kernel
	.section	.text._ZN9rocsolver6v33100L10init_identI19rocblas_complex_numIfEPS3_EEviiT0_iil,"axG",@progbits,_ZN9rocsolver6v33100L10init_identI19rocblas_complex_numIfEPS3_EEviiT0_iil,comdat
.Lfunc_end14:
	.size	_ZN9rocsolver6v33100L10init_identI19rocblas_complex_numIfEPS3_EEviiT0_iil, .Lfunc_end14-_ZN9rocsolver6v33100L10init_identI19rocblas_complex_numIfEPS3_EEviiT0_iil
                                        ; -- End function
	.set _ZN9rocsolver6v33100L10init_identI19rocblas_complex_numIfEPS3_EEviiT0_iil.num_vgpr, 4
	.set _ZN9rocsolver6v33100L10init_identI19rocblas_complex_numIfEPS3_EEviiT0_iil.num_agpr, 0
	.set _ZN9rocsolver6v33100L10init_identI19rocblas_complex_numIfEPS3_EEviiT0_iil.numbered_sgpr, 11
	.set _ZN9rocsolver6v33100L10init_identI19rocblas_complex_numIfEPS3_EEviiT0_iil.num_named_barrier, 0
	.set _ZN9rocsolver6v33100L10init_identI19rocblas_complex_numIfEPS3_EEviiT0_iil.private_seg_size, 0
	.set _ZN9rocsolver6v33100L10init_identI19rocblas_complex_numIfEPS3_EEviiT0_iil.uses_vcc, 1
	.set _ZN9rocsolver6v33100L10init_identI19rocblas_complex_numIfEPS3_EEviiT0_iil.uses_flat_scratch, 0
	.set _ZN9rocsolver6v33100L10init_identI19rocblas_complex_numIfEPS3_EEviiT0_iil.has_dyn_sized_stack, 0
	.set _ZN9rocsolver6v33100L10init_identI19rocblas_complex_numIfEPS3_EEviiT0_iil.has_recursion, 0
	.set _ZN9rocsolver6v33100L10init_identI19rocblas_complex_numIfEPS3_EEviiT0_iil.has_indirect_call, 0
	.section	.AMDGPU.csdata,"",@progbits
; Kernel info:
; codeLenInByte = 376
; TotalNumSgprs: 13
; NumVgprs: 4
; ScratchSize: 0
; MemoryBound: 0
; FloatMode: 240
; IeeeMode: 1
; LDSByteSize: 0 bytes/workgroup (compile time only)
; SGPRBlocks: 0
; VGPRBlocks: 0
; NumSGPRsForWavesPerEU: 13
; NumVGPRsForWavesPerEU: 4
; NamedBarCnt: 0
; Occupancy: 16
; WaveLimiterHint : 0
; COMPUTE_PGM_RSRC2:SCRATCH_EN: 0
; COMPUTE_PGM_RSRC2:USER_SGPR: 2
; COMPUTE_PGM_RSRC2:TRAP_HANDLER: 0
; COMPUTE_PGM_RSRC2:TGID_X_EN: 1
; COMPUTE_PGM_RSRC2:TGID_Y_EN: 1
; COMPUTE_PGM_RSRC2:TGID_Z_EN: 1
; COMPUTE_PGM_RSRC2:TIDIG_COMP_CNT: 1
	.section	.text._ZN9rocsolver6v33100L11lasr_kernelI19rocblas_complex_numIfEfPS3_iEEv13rocblas_side_14rocblas_pivot_15rocblas_direct_T2_S8_PT0_lSA_lT1_lS8_lS8_,"axG",@progbits,_ZN9rocsolver6v33100L11lasr_kernelI19rocblas_complex_numIfEfPS3_iEEv13rocblas_side_14rocblas_pivot_15rocblas_direct_T2_S8_PT0_lSA_lT1_lS8_lS8_,comdat
	.globl	_ZN9rocsolver6v33100L11lasr_kernelI19rocblas_complex_numIfEfPS3_iEEv13rocblas_side_14rocblas_pivot_15rocblas_direct_T2_S8_PT0_lSA_lT1_lS8_lS8_ ; -- Begin function _ZN9rocsolver6v33100L11lasr_kernelI19rocblas_complex_numIfEfPS3_iEEv13rocblas_side_14rocblas_pivot_15rocblas_direct_T2_S8_PT0_lSA_lT1_lS8_lS8_
	.p2align	8
	.type	_ZN9rocsolver6v33100L11lasr_kernelI19rocblas_complex_numIfEfPS3_iEEv13rocblas_side_14rocblas_pivot_15rocblas_direct_T2_S8_PT0_lSA_lT1_lS8_lS8_,@function
_ZN9rocsolver6v33100L11lasr_kernelI19rocblas_complex_numIfEfPS3_iEEv13rocblas_side_14rocblas_pivot_15rocblas_direct_T2_S8_PT0_lSA_lT1_lS8_lS8_: ; @_ZN9rocsolver6v33100L11lasr_kernelI19rocblas_complex_numIfEfPS3_iEEv13rocblas_side_14rocblas_pivot_15rocblas_direct_T2_S8_PT0_lSA_lT1_lS8_lS8_
; %bb.0:
	s_load_b32 s33, s[0:1], 0x58
	s_bfe_u32 s2, ttmp6, 0x40014
	s_lshr_b32 s3, ttmp7, 16
	s_add_co_i32 s2, s2, 1
	s_bfe_u32 s5, ttmp6, 0x40008
	s_mul_i32 s2, s3, s2
	s_getreg_b32 s4, hwreg(HW_REG_IB_STS2, 6, 4)
	s_add_co_i32 s5, s5, s2
	s_cmp_eq_u32 s4, 0
	s_cselect_b32 s2, s3, s5
	s_mov_b32 s3, 0
	s_wait_kmcnt 0x0
	s_cmp_ge_u32 s2, s33
	s_cbranch_scc1 .LBB15_108
; %bb.1:
	s_clause 0x3
	s_load_b32 s20, s[0:1], 0x48
	s_load_b64 s[22:23], s[0:1], 0x68
	s_load_b128 s[16:19], s[0:1], 0x38
	s_load_b128 s[12:15], s[0:1], 0x0
	s_bfe_u32 s5, ttmp6, 0x4000c
	s_and_b32 s6, ttmp6, 15
	s_add_co_i32 s5, s5, 1
	s_load_b32 s24, s[0:1], 0x60
	s_mul_i32 s5, ttmp9, s5
	s_mov_b32 s37, s3
	s_add_co_i32 s6, s6, s5
	s_mov_b32 s49, s3
	s_wait_kmcnt 0x0
	s_ashr_i32 s21, s20, 31
	s_and_b32 s25, s23, 0xffff
	s_cmp_eq_u32 s4, 0
	s_load_b32 s23, s[0:1], 0x10
	s_cselect_b32 s26, ttmp9, s6
	s_lshl_b64 s[46:47], s[18:19], 3
	v_mad_u32 v0, s26, s25, v0
	s_cmp_eq_u32 s12, 0x8d
	s_load_b64 s[18:19], s[0:1], 0x50
	s_cselect_b32 s27, -1, 0
	s_cmp_eq_u32 s12, 0x8e
	s_load_b256 s[4:11], s[0:1], 0x18
	s_cselect_b32 s28, -1, 0
	s_cmp_eq_u32 s13, 0x119
	s_mul_i32 s12, s24, s25
	s_cselect_b32 s29, -1, 0
	s_cmp_eq_u32 s13, 0x11b
	v_ashrrev_i32_e32 v1, 31, v0
	s_wait_xcnt 0x0
	s_cselect_b32 s0, -1, 0
	s_cmp_eq_u32 s13, 0x11a
	s_add_nc_u64 s[24:25], s[16:17], s[46:47]
	s_cselect_b32 s1, -1, 0
	v_mul_u64_e32 v[10:11], s[20:21], v[0:1]
	s_cmp_eq_u32 s14, 0xab
	v_lshlrev_b64_e32 v[8:9], 3, v[0:1]
	s_cselect_b32 s13, -1, 0
	s_cmp_eq_u32 s14, 0xac
	v_mov_b32_e32 v1, 0
	s_cselect_b32 s26, -1, 0
	s_and_b32 s14, s27, s29
	s_and_b32 s30, s27, s1
	s_and_b32 s31, s14, s13
	s_and_b32 s27, s27, s0
	s_and_b32 s34, s14, s26
	s_xor_b32 s14, s31, -1
	s_and_b32 s31, s27, s13
	s_and_b32 s29, s28, s29
	;; [unrolled: 1-line block ×4, first 2 shown]
	s_xor_b32 s80, s27, -1
	s_and_b32 s27, s29, s26
	s_and_b32 s30, s30, s26
	s_xor_b32 s82, s27, -1
	s_and_b32 s27, s28, s0
	v_cmp_gt_i32_e64 s0, s15, v0
	s_and_b32 s1, s28, s1
	s_xor_b32 s78, s30, -1
	s_and_b32 s30, s29, s13
	s_and_b32 s29, s1, s13
	;; [unrolled: 1-line block ×4, first 2 shown]
	s_xor_b32 s84, s1, -1
	s_and_b32 s1, s26, s0
	s_wait_kmcnt 0x0
	s_add_co_i32 s26, s23, -1
	s_xor_b32 s76, s34, -1
	s_xor_b32 s77, s35, -1
	;; [unrolled: 1-line block ×6, first 2 shown]
	s_and_b32 s86, s27, s1
	s_ashr_i32 s27, s26, 31
	s_add_co_i32 s36, s23, -2
	s_cmp_gt_i32 s23, 1
	s_mul_u64 s[28:29], s[20:21], s[26:27]
	s_mov_b32 s27, s3
	s_cselect_b32 s87, -1, 0
	s_ashr_i32 s31, s15, 31
	s_add_co_i32 s48, s15, -2
	s_cmp_gt_i32 s15, 1
	s_mul_u64 s[50:51], s[20:21], s[26:27]
	s_cselect_b32 s88, -1, 0
	s_lshl_b64 s[38:39], s[36:37], 2
	s_mul_u64 s[36:37], s[20:21], s[36:37]
	s_lshl_b64 s[50:51], s[50:51], 3
	s_lshl_b64 s[36:37], s[36:37], 3
	;; [unrolled: 1-line block ×3, first 2 shown]
	s_add_nc_u64 s[50:51], s[50:51], s[46:47]
	s_add_nc_u64 s[40:41], s[36:37], s[46:47]
	;; [unrolled: 1-line block ×4, first 2 shown]
	v_lshl_add_u64 v[14:15], v[10:11], 3, s[46:47]
	s_add_nc_u64 s[34:35], s[4:5], s[38:39]
	s_add_nc_u64 s[36:37], s[8:9], s[38:39]
	;; [unrolled: 1-line block ×4, first 2 shown]
	v_add_nc_u64_e32 v[6:7], s[50:51], v[8:9]
	s_lshl_b64 s[50:51], s[48:49], 3
	v_add_nc_u64_e32 v[2:3], s[38:39], v[8:9]
	v_add_nc_u64_e32 v[4:5], s[24:25], v[8:9]
	;; [unrolled: 1-line block ×3, first 2 shown]
	s_lshl_b64 s[52:53], s[48:49], 2
	s_add_nc_u64 s[48:49], s[16:17], s[50:51]
	v_add_nc_u64_e32 v[10:11], s[16:17], v[14:15]
	v_add_nc_u64_e32 v[12:13], s[48:49], v[14:15]
	s_add_co_i32 s46, s15, -1
	s_mov_b32 s47, s3
	s_ashr_i32 s13, s12, 31
	s_lshl_b64 s[50:51], s[46:47], 3
	v_cmp_gt_i32_e64 s1, s23, v0
	s_add_nc_u64 s[16:17], s[16:17], s[50:51]
	v_add_nc_u64_e32 v[16:17], 8, v[10:11]
	v_add_nc_u64_e32 v[14:15], s[16:17], v[14:15]
	;; [unrolled: 1-line block ×3, first 2 shown]
	s_mul_u64 s[50:51], s[20:21], s[12:13]
	s_mov_b32 s30, s15
	s_lshl_b64 s[6:7], s[6:7], 2
	s_lshl_b64 s[10:11], s[10:11], 2
	;; [unrolled: 1-line block ×4, first 2 shown]
	s_sub_nc_u64 s[44:45], 0, s[42:43]
	s_add_co_i32 s27, s23, 1
	s_add_nc_u64 s[48:49], s[4:5], s[52:53]
	s_add_nc_u64 s[16:17], s[8:9], s[52:53]
	s_lshl_b64 s[50:51], s[50:51], 3
	s_add_co_i32 s13, s15, 1
	s_branch .LBB15_4
.LBB15_2:                               ;   in Loop: Header=BB15_4 Depth=1
	s_or_b32 exec_lo, exec_lo, s47
.LBB15_3:                               ;   in Loop: Header=BB15_4 Depth=1
	s_add_co_i32 s2, s2, s22
	s_delay_alu instid0(SALU_CYCLE_1)
	s_cmp_ge_u32 s2, s33
	s_cbranch_scc1 .LBB15_108
.LBB15_4:                               ; =>This Loop Header: Depth=1
                                        ;     Child Loop BB15_19 Depth 2
                                        ;       Child Loop BB15_20 Depth 3
                                        ;     Child Loop BB15_26 Depth 2
                                        ;       Child Loop BB15_27 Depth 3
	;; [unrolled: 2-line block ×12, first 2 shown]
	s_mul_u64 s[62:63], s[38:39], s[2:3]
	s_mul_u64 s[54:55], s[18:19], s[2:3]
	v_add_nc_u64_e32 v[20:21], s[62:63], v[16:17]
	s_mul_u64 s[64:65], s[6:7], s[2:3]
	s_mul_u64 s[66:67], s[10:11], s[2:3]
	s_lshl_b64 s[56:57], s[54:55], 3
	s_add_nc_u64 s[52:53], s[4:5], s[64:65]
	s_add_nc_u64 s[54:55], s[8:9], s[66:67]
	s_add_nc_u64 s[56:57], s[24:25], s[56:57]
	s_and_b32 vcc_lo, exec_lo, s14
	s_mov_b32 s47, -1
	s_cbranch_vccnz .LBB15_6
; %bb.5:                                ;   in Loop: Header=BB15_4 Depth=1
	s_and_not1_b32 vcc_lo, exec_lo, s47
	s_cbranch_vccnz .LBB15_3
	s_branch .LBB15_103
.LBB15_6:                               ;   in Loop: Header=BB15_4 Depth=1
	s_add_nc_u64 s[58:59], s[48:49], s[64:65]
	s_add_nc_u64 s[60:61], s[16:17], s[66:67]
	s_and_b32 vcc_lo, exec_lo, s76
	s_cbranch_vccz .LBB15_95
; %bb.7:                                ;   in Loop: Header=BB15_4 Depth=1
	s_and_b32 vcc_lo, exec_lo, s77
	s_cbranch_vccz .LBB15_87
; %bb.8:                                ;   in Loop: Header=BB15_4 Depth=1
	;; [unrolled: 3-line block ×3, first 2 shown]
	s_and_b32 vcc_lo, exec_lo, s79
	s_cbranch_vccz .LBB15_71
; %bb.10:                               ;   in Loop: Header=BB15_4 Depth=1
	s_and_b32 vcc_lo, exec_lo, s80
	s_cbranch_vccz .LBB15_63
; %bb.11:                               ;   in Loop: Header=BB15_4 Depth=1
	v_add_nc_u64_e32 v[22:23], s[62:63], v[4:5]
	s_and_b32 vcc_lo, exec_lo, s81
	s_cbranch_vccz .LBB15_55
; %bb.12:                               ;   in Loop: Header=BB15_4 Depth=1
	v_add_nc_u64_e32 v[24:25], s[62:63], v[6:7]
	v_add_nc_u64_e32 v[26:27], s[62:63], v[2:3]
	s_add_nc_u64 s[64:65], s[34:35], s[64:65]
	s_add_nc_u64 s[66:67], s[36:37], s[66:67]
	s_and_b32 vcc_lo, exec_lo, s82
	s_cbranch_vccz .LBB15_46
; %bb.13:                               ;   in Loop: Header=BB15_4 Depth=1
	s_and_b32 vcc_lo, exec_lo, s83
	s_cbranch_vccz .LBB15_38
; %bb.14:                               ;   in Loop: Header=BB15_4 Depth=1
	;; [unrolled: 3-line block ×4, first 2 shown]
	s_and_saveexec_b32 s47, s86
	s_cbranch_execz .LBB15_21
; %bb.17:                               ;   in Loop: Header=BB15_4 Depth=1
	v_mov_b64_e32 v[28:29], v[26:27]
	v_mov_b32_e32 v30, v0
	s_lshl_b64 s[68:69], s[28:29], 3
	s_mov_b32 s74, 0
	s_add_nc_u64 s[68:69], s[56:57], s[68:69]
	s_branch .LBB15_19
.LBB15_18:                              ;   in Loop: Header=BB15_19 Depth=2
	v_ashrrev_i32_e32 v31, 31, v30
	v_add_nc_u64_e32 v[28:29], s[40:41], v[28:29]
	s_delay_alu instid0(VALU_DEP_2)
	v_lshl_add_u64 v[34:35], v[30:31], 3, s[68:69]
	s_wait_xcnt 0x0
	v_add_nc_u32_e32 v30, s12, v30
	s_wait_loadcnt 0x0
	global_store_b64 v[34:35], v[32:33], off
	v_cmp_le_i32_e32 vcc_lo, s15, v30
	s_or_b32 s74, vcc_lo, s74
	s_wait_xcnt 0x0
	s_and_not1_b32 exec_lo, exec_lo, s74
	s_cbranch_execz .LBB15_21
.LBB15_19:                              ;   Parent Loop BB15_4 Depth=1
                                        ; =>  This Loop Header: Depth=2
                                        ;       Child Loop BB15_20 Depth 3
	global_load_b64 v[32:33], v30, s[68:69] scale_offset
	v_mov_b64_e32 v[34:35], v[28:29]
	s_and_not1_b32 vcc_lo, exec_lo, s87
	s_mov_b64 s[70:71], s[66:67]
	s_mov_b64 s[72:73], s[64:65]
	s_mov_b32 s75, s26
	s_cbranch_vccnz .LBB15_18
.LBB15_20:                              ;   Parent Loop BB15_4 Depth=1
                                        ;     Parent Loop BB15_19 Depth=2
                                        ; =>    This Inner Loop Header: Depth=3
	global_load_b64 v[36:37], v[34:35], off
	s_clause 0x1
	global_load_b32 v38, v1, s[72:73]
	global_load_b32 v40, v1, s[70:71]
	s_add_co_i32 s75, s75, -1
	s_wait_xcnt 0x1
	s_add_nc_u64 s[72:73], s[72:73], -4
	s_cmp_eq_u32 s75, 0
	s_wait_xcnt 0x0
	s_add_nc_u64 s[70:71], s[70:71], -4
	s_wait_loadcnt 0x1
	v_pk_mul_f32 v[42:43], v[38:39], v[36:37] op_sel_hi:[0,1]
	s_wait_loadcnt 0x0
	v_pk_mul_f32 v[36:37], v[40:41], v[36:37] op_sel_hi:[0,1]
	s_delay_alu instid0(VALU_DEP_2) | instskip(NEXT) | instid1(VALU_DEP_2)
	v_pk_fma_f32 v[42:43], v[32:33], v[40:41], v[42:43] op_sel_hi:[1,0,1]
	v_pk_fma_f32 v[32:33], v[32:33], v[38:39], v[36:37] op_sel_hi:[1,0,1] neg_lo:[0,0,1] neg_hi:[0,0,1]
	global_store_b64 v[34:35], v[42:43], off
	s_wait_xcnt 0x0
	v_add_nc_u64_e32 v[34:35], s[44:45], v[34:35]
	s_cbranch_scc0 .LBB15_20
	s_branch .LBB15_18
.LBB15_21:                              ;   in Loop: Header=BB15_4 Depth=1
	s_or_b32 exec_lo, exec_lo, s47
	s_mov_b32 s47, 0
.LBB15_22:                              ;   in Loop: Header=BB15_4 Depth=1
	s_delay_alu instid0(SALU_CYCLE_1)
	s_and_not1_b32 vcc_lo, exec_lo, s47
	s_cbranch_vccnz .LBB15_29
; %bb.23:                               ;   in Loop: Header=BB15_4 Depth=1
	s_and_saveexec_b32 s47, s0
	s_cbranch_execz .LBB15_28
; %bb.24:                               ;   in Loop: Header=BB15_4 Depth=1
	v_mov_b64_e32 v[28:29], v[22:23]
	v_mov_b32_e32 v30, v0
	s_lshl_b64 s[68:69], s[28:29], 3
	s_mov_b32 s74, 0
	s_add_nc_u64 s[68:69], s[56:57], s[68:69]
	s_branch .LBB15_26
.LBB15_25:                              ;   in Loop: Header=BB15_26 Depth=2
	v_ashrrev_i32_e32 v31, 31, v30
	v_add_nc_u64_e32 v[28:29], s[40:41], v[28:29]
	s_delay_alu instid0(VALU_DEP_2)
	v_lshl_add_u64 v[34:35], v[30:31], 3, s[68:69]
	s_wait_xcnt 0x0
	v_add_nc_u32_e32 v30, s12, v30
	s_wait_loadcnt 0x0
	global_store_b64 v[34:35], v[32:33], off
	v_cmp_le_i32_e32 vcc_lo, s15, v30
	s_or_b32 s74, vcc_lo, s74
	s_wait_xcnt 0x0
	s_and_not1_b32 exec_lo, exec_lo, s74
	s_cbranch_execz .LBB15_28
.LBB15_26:                              ;   Parent Loop BB15_4 Depth=1
                                        ; =>  This Loop Header: Depth=2
                                        ;       Child Loop BB15_27 Depth 3
	global_load_b64 v[32:33], v30, s[68:69] scale_offset
	v_mov_b64_e32 v[34:35], v[28:29]
	s_and_not1_b32 vcc_lo, exec_lo, s87
	s_mov_b64 s[70:71], s[54:55]
	s_mov_b64 s[72:73], s[52:53]
	s_mov_b32 s75, s26
	s_cbranch_vccnz .LBB15_25
.LBB15_27:                              ;   Parent Loop BB15_4 Depth=1
                                        ;     Parent Loop BB15_26 Depth=2
                                        ; =>    This Inner Loop Header: Depth=3
	global_load_b64 v[36:37], v[34:35], off
	s_clause 0x1
	global_load_b32 v38, v1, s[72:73]
	global_load_b32 v40, v1, s[70:71]
	s_add_co_i32 s75, s75, -1
	s_wait_xcnt 0x1
	s_add_nc_u64 s[72:73], s[72:73], 4
	s_cmp_eq_u32 s75, 0
	s_wait_xcnt 0x0
	s_add_nc_u64 s[70:71], s[70:71], 4
	s_wait_loadcnt 0x1
	v_pk_mul_f32 v[42:43], v[38:39], v[36:37] op_sel_hi:[0,1]
	s_wait_loadcnt 0x0
	v_pk_mul_f32 v[36:37], v[40:41], v[36:37] op_sel_hi:[0,1]
	s_delay_alu instid0(VALU_DEP_2) | instskip(NEXT) | instid1(VALU_DEP_2)
	v_pk_fma_f32 v[42:43], v[32:33], v[40:41], v[42:43] op_sel_hi:[1,0,1]
	v_pk_fma_f32 v[32:33], v[32:33], v[38:39], v[36:37] op_sel_hi:[1,0,1] neg_lo:[0,0,1] neg_hi:[0,0,1]
	global_store_b64 v[34:35], v[42:43], off
	s_wait_xcnt 0x0
	v_add_nc_u64_e32 v[34:35], s[42:43], v[34:35]
	s_cbranch_scc0 .LBB15_27
	s_branch .LBB15_25
.LBB15_28:                              ;   in Loop: Header=BB15_4 Depth=1
	s_or_b32 exec_lo, exec_lo, s47
.LBB15_29:                              ;   in Loop: Header=BB15_4 Depth=1
	s_mov_b32 s47, 0
.LBB15_30:                              ;   in Loop: Header=BB15_4 Depth=1
	s_delay_alu instid0(SALU_CYCLE_1)
	s_and_not1_b32 vcc_lo, exec_lo, s47
	s_cbranch_vccnz .LBB15_37
; %bb.31:                               ;   in Loop: Header=BB15_4 Depth=1
	s_and_saveexec_b32 s47, s0
	s_cbranch_execz .LBB15_36
; %bb.32:                               ;   in Loop: Header=BB15_4 Depth=1
	v_mov_b64_e32 v[28:29], v[24:25]
	v_mov_b32_e32 v30, v0
	s_mov_b32 s72, 0
	s_branch .LBB15_34
.LBB15_33:                              ;   in Loop: Header=BB15_34 Depth=2
	v_ashrrev_i32_e32 v31, 31, v30
	v_add_nc_u64_e32 v[28:29], s[40:41], v[28:29]
	s_delay_alu instid0(VALU_DEP_2)
	v_lshl_add_u64 v[34:35], v[30:31], 3, s[56:57]
	s_wait_xcnt 0x0
	v_add_nc_u32_e32 v30, s12, v30
	s_wait_loadcnt 0x0
	global_store_b64 v[34:35], v[32:33], off
	v_cmp_le_i32_e32 vcc_lo, s15, v30
	s_or_b32 s72, vcc_lo, s72
	s_wait_xcnt 0x0
	s_and_not1_b32 exec_lo, exec_lo, s72
	s_cbranch_execz .LBB15_36
.LBB15_34:                              ;   Parent Loop BB15_4 Depth=1
                                        ; =>  This Loop Header: Depth=2
                                        ;       Child Loop BB15_35 Depth 3
	global_load_b64 v[32:33], v30, s[56:57] scale_offset
	v_mov_b64_e32 v[34:35], v[28:29]
	s_and_not1_b32 vcc_lo, exec_lo, s87
	s_mov_b64 s[68:69], s[66:67]
	s_mov_b64 s[70:71], s[64:65]
	s_mov_b32 s73, s27
	s_cbranch_vccnz .LBB15_33
.LBB15_35:                              ;   Parent Loop BB15_4 Depth=1
                                        ;     Parent Loop BB15_34 Depth=2
                                        ; =>    This Inner Loop Header: Depth=3
	s_clause 0x1
	global_load_b32 v36, v1, s[68:69]
	global_load_b32 v38, v1, s[70:71]
	global_load_b64 v[40:41], v[34:35], off
	s_add_co_i32 s73, s73, -1
	s_wait_xcnt 0x1
	s_add_nc_u64 s[70:71], s[70:71], -4
	s_cmp_lt_u32 s73, 3
	s_add_nc_u64 s[68:69], s[68:69], -4
	s_wait_loadcnt 0x2
	v_pk_mul_f32 v[42:43], v[32:33], v[36:37] op_sel_hi:[1,0]
	s_wait_loadcnt 0x0
	v_pk_mul_f32 v[36:37], v[36:37], v[40:41] op_sel_hi:[0,1]
	s_delay_alu instid0(VALU_DEP_2) | instskip(NEXT) | instid1(VALU_DEP_2)
	v_pk_fma_f32 v[42:43], v[38:39], v[40:41], v[42:43] op_sel_hi:[0,1,1] neg_lo:[0,0,1] neg_hi:[0,0,1]
	v_pk_fma_f32 v[32:33], v[32:33], v[38:39], v[36:37] op_sel_hi:[1,0,1]
	global_store_b64 v[34:35], v[42:43], off
	s_wait_xcnt 0x0
	v_add_nc_u64_e32 v[34:35], s[44:45], v[34:35]
	s_cbranch_scc0 .LBB15_35
	s_branch .LBB15_33
.LBB15_36:                              ;   in Loop: Header=BB15_4 Depth=1
	s_or_b32 exec_lo, exec_lo, s47
.LBB15_37:                              ;   in Loop: Header=BB15_4 Depth=1
	s_mov_b32 s47, 0
.LBB15_38:                              ;   in Loop: Header=BB15_4 Depth=1
	s_delay_alu instid0(SALU_CYCLE_1)
	s_and_not1_b32 vcc_lo, exec_lo, s47
	s_cbranch_vccnz .LBB15_45
; %bb.39:                               ;   in Loop: Header=BB15_4 Depth=1
	s_and_saveexec_b32 s47, s0
	s_cbranch_execz .LBB15_44
; %bb.40:                               ;   in Loop: Header=BB15_4 Depth=1
	v_add_nc_u64_e32 v[28:29], s[62:63], v[8:9]
	v_mov_b32_e32 v30, v0
	s_mov_b32 s72, 0
	s_branch .LBB15_42
.LBB15_41:                              ;   in Loop: Header=BB15_42 Depth=2
	v_ashrrev_i32_e32 v31, 31, v30
	v_add_nc_u64_e32 v[28:29], s[40:41], v[28:29]
	s_delay_alu instid0(VALU_DEP_2)
	v_lshl_add_u64 v[34:35], v[30:31], 3, s[56:57]
	s_wait_xcnt 0x0
	v_add_nc_u32_e32 v30, s12, v30
	s_wait_loadcnt 0x0
	global_store_b64 v[34:35], v[32:33], off
	v_cmp_le_i32_e32 vcc_lo, s15, v30
	s_or_b32 s72, vcc_lo, s72
	s_wait_xcnt 0x0
	s_and_not1_b32 exec_lo, exec_lo, s72
	s_cbranch_execz .LBB15_44
.LBB15_42:                              ;   Parent Loop BB15_4 Depth=1
                                        ; =>  This Loop Header: Depth=2
                                        ;       Child Loop BB15_43 Depth 3
	global_load_b64 v[32:33], v30, s[56:57] scale_offset
	v_mov_b64_e32 v[34:35], v[28:29]
	s_and_not1_b32 vcc_lo, exec_lo, s87
	s_mov_b32 s73, s26
	s_mov_b64 s[68:69], s[52:53]
	s_mov_b64 s[70:71], s[54:55]
	s_cbranch_vccnz .LBB15_41
.LBB15_43:                              ;   Parent Loop BB15_4 Depth=1
                                        ;     Parent Loop BB15_42 Depth=2
                                        ; =>    This Inner Loop Header: Depth=3
	s_clause 0x1
	global_load_b32 v36, v1, s[70:71]
	global_load_b32 v38, v1, s[68:69]
	global_load_b64 v[40:41], v[34:35], off
	s_add_co_i32 s73, s73, -1
	s_wait_xcnt 0x2
	s_add_nc_u64 s[70:71], s[70:71], 4
	s_cmp_eq_u32 s73, 0
	s_wait_xcnt 0x1
	s_add_nc_u64 s[68:69], s[68:69], 4
	s_wait_loadcnt 0x2
	v_pk_mul_f32 v[42:43], v[32:33], v[36:37] op_sel_hi:[1,0]
	s_wait_loadcnt 0x0
	v_pk_mul_f32 v[36:37], v[36:37], v[40:41] op_sel_hi:[0,1]
	s_delay_alu instid0(VALU_DEP_2) | instskip(NEXT) | instid1(VALU_DEP_2)
	v_pk_fma_f32 v[42:43], v[38:39], v[40:41], v[42:43] op_sel_hi:[0,1,1] neg_lo:[0,0,1] neg_hi:[0,0,1]
	v_pk_fma_f32 v[32:33], v[32:33], v[38:39], v[36:37] op_sel_hi:[1,0,1]
	global_store_b64 v[34:35], v[42:43], off
	s_wait_xcnt 0x0
	v_add_nc_u64_e32 v[34:35], s[42:43], v[34:35]
	s_cbranch_scc0 .LBB15_43
	s_branch .LBB15_41
.LBB15_44:                              ;   in Loop: Header=BB15_4 Depth=1
	s_or_b32 exec_lo, exec_lo, s47
.LBB15_45:                              ;   in Loop: Header=BB15_4 Depth=1
	s_mov_b32 s47, 0
.LBB15_46:                              ;   in Loop: Header=BB15_4 Depth=1
	s_delay_alu instid0(SALU_CYCLE_1)
	s_and_not1_b32 vcc_lo, exec_lo, s47
	s_cbranch_vccnz .LBB15_54
; %bb.47:                               ;   in Loop: Header=BB15_4 Depth=1
	s_and_saveexec_b32 s47, s0
	s_cbranch_execz .LBB15_53
; %bb.48:                               ;   in Loop: Header=BB15_4 Depth=1
	v_mov_b32_e32 v28, v0
	s_lshl_b64 s[68:69], s[28:29], 3
	s_mov_b32 s89, 0
	s_add_nc_u64 s[68:69], s[56:57], s[68:69]
	s_branch .LBB15_50
.LBB15_49:                              ;   in Loop: Header=BB15_50 Depth=2
	v_ashrrev_i32_e32 v29, 31, v28
	v_add_nc_u64_e32 v[24:25], s[40:41], v[24:25]
	v_add_nc_u64_e32 v[26:27], s[40:41], v[26:27]
	s_delay_alu instid0(VALU_DEP_3)
	v_lshl_add_u64 v[32:33], v[28:29], 3, s[56:57]
	s_wait_xcnt 0x0
	v_add_nc_u32_e32 v28, s12, v28
	s_wait_loadcnt 0x0
	global_store_b64 v[32:33], v[30:31], off
	v_cmp_le_i32_e32 vcc_lo, s15, v28
	s_or_b32 s89, vcc_lo, s89
	s_wait_xcnt 0x0
	s_and_not1_b32 exec_lo, exec_lo, s89
	s_cbranch_execz .LBB15_53
.LBB15_50:                              ;   Parent Loop BB15_4 Depth=1
                                        ; =>  This Loop Header: Depth=2
                                        ;       Child Loop BB15_52 Depth 3
	global_load_b64 v[30:31], v28, s[68:69] scale_offset
	s_and_not1_b32 vcc_lo, exec_lo, s87
	s_cbranch_vccnz .LBB15_49
; %bb.51:                               ;   in Loop: Header=BB15_50 Depth=2
	s_mov_b64 s[70:71], 0
	s_mov_b64 s[72:73], s[66:67]
	s_mov_b64 s[74:75], s[64:65]
	s_mov_b32 s90, s26
.LBB15_52:                              ;   Parent Loop BB15_4 Depth=1
                                        ;     Parent Loop BB15_50 Depth=2
                                        ; =>    This Inner Loop Header: Depth=3
	v_add_nc_u64_e32 v[32:33], s[70:71], v[26:27]
	s_wait_xcnt 0x0
	v_add_nc_u64_e32 v[40:41], s[70:71], v[24:25]
	s_add_co_i32 s90, s90, -1
	s_sub_nc_u64 s[70:71], s[70:71], s[42:43]
	s_cmp_eq_u32 s90, 0
	s_clause 0x1
	global_load_b32 v34, v1, s[74:75]
	global_load_b32 v36, v1, s[72:73]
	global_load_b64 v[32:33], v[32:33], off
	s_wait_xcnt 0x2
	s_add_nc_u64 s[74:75], s[74:75], -4
	s_wait_xcnt 0x1
	s_add_nc_u64 s[72:73], s[72:73], -4
	s_wait_loadcnt 0x0
	v_pk_mul_f32 v[38:39], v[36:37], v[32:33] op_sel_hi:[0,1]
	s_wait_xcnt 0x0
	v_pk_mul_f32 v[32:33], v[34:35], v[32:33] op_sel_hi:[0,1]
	s_delay_alu instid0(VALU_DEP_2) | instskip(NEXT) | instid1(VALU_DEP_2)
	v_pk_fma_f32 v[34:35], v[30:31], v[34:35], v[38:39] op_sel_hi:[1,0,1] neg_lo:[0,0,1] neg_hi:[0,0,1]
	v_pk_fma_f32 v[30:31], v[30:31], v[36:37], v[32:33] op_sel_hi:[1,0,1]
	global_store_b64 v[40:41], v[34:35], off
	s_cbranch_scc0 .LBB15_52
	s_branch .LBB15_49
.LBB15_53:                              ;   in Loop: Header=BB15_4 Depth=1
	s_or_b32 exec_lo, exec_lo, s47
.LBB15_54:                              ;   in Loop: Header=BB15_4 Depth=1
	s_mov_b32 s47, 0
.LBB15_55:                              ;   in Loop: Header=BB15_4 Depth=1
	s_delay_alu instid0(SALU_CYCLE_1)
	s_and_not1_b32 vcc_lo, exec_lo, s47
	s_cbranch_vccnz .LBB15_62
; %bb.56:                               ;   in Loop: Header=BB15_4 Depth=1
	s_and_saveexec_b32 s47, s0
	s_cbranch_execz .LBB15_61
; %bb.57:                               ;   in Loop: Header=BB15_4 Depth=1
	v_mov_b32_e32 v24, v0
	s_lshl_b64 s[64:65], s[28:29], 3
	s_mov_b32 s70, 0
	s_add_nc_u64 s[64:65], s[56:57], s[64:65]
	s_branch .LBB15_59
.LBB15_58:                              ;   in Loop: Header=BB15_59 Depth=2
	v_ashrrev_i32_e32 v25, 31, v24
	v_add_nc_u64_e32 v[22:23], s[40:41], v[22:23]
	s_delay_alu instid0(VALU_DEP_2)
	v_lshl_add_u64 v[28:29], v[24:25], 3, s[64:65]
	s_wait_xcnt 0x0
	v_add_nc_u32_e32 v24, s12, v24
	s_wait_loadcnt 0x0
	global_store_b64 v[28:29], v[26:27], off
	v_cmp_le_i32_e32 vcc_lo, s15, v24
	s_or_b32 s70, vcc_lo, s70
	s_wait_xcnt 0x0
	s_and_not1_b32 exec_lo, exec_lo, s70
	s_cbranch_execz .LBB15_61
.LBB15_59:                              ;   Parent Loop BB15_4 Depth=1
                                        ; =>  This Loop Header: Depth=2
                                        ;       Child Loop BB15_60 Depth 3
	global_load_b64 v[26:27], v24, s[56:57] scale_offset
	v_mov_b64_e32 v[28:29], v[22:23]
	s_and_not1_b32 vcc_lo, exec_lo, s87
	s_mov_b64 s[66:67], s[54:55]
	s_mov_b64 s[68:69], s[52:53]
	s_mov_b32 s71, s26
	s_cbranch_vccnz .LBB15_58
.LBB15_60:                              ;   Parent Loop BB15_4 Depth=1
                                        ;     Parent Loop BB15_59 Depth=2
                                        ; =>    This Inner Loop Header: Depth=3
	s_delay_alu instid0(VALU_DEP_1)
	v_add_nc_u64_e32 v[30:31], s[42:43], v[28:29]
	s_add_co_i32 s71, s71, -1
	global_load_b64 v[32:33], v[30:31], off
	s_clause 0x1
	global_load_b32 v34, v1, s[66:67]
	global_load_b32 v36, v1, s[68:69]
	s_wait_xcnt 0x0
	s_add_nc_u64 s[68:69], s[68:69], 4
	s_cmp_eq_u32 s71, 0
	s_add_nc_u64 s[66:67], s[66:67], 4
	s_wait_loadcnt 0x1
	v_pk_mul_f32 v[38:39], v[34:35], v[32:33] op_sel_hi:[0,1]
	v_pk_mul_f32 v[34:35], v[26:27], v[34:35] op_sel_hi:[1,0]
	s_wait_loadcnt 0x0
	s_delay_alu instid0(VALU_DEP_2) | instskip(NEXT) | instid1(VALU_DEP_2)
	v_pk_fma_f32 v[38:39], v[26:27], v[36:37], v[38:39] op_sel_hi:[1,0,1]
	v_pk_fma_f32 v[26:27], v[36:37], v[32:33], v[34:35] op_sel_hi:[0,1,1] neg_lo:[0,0,1] neg_hi:[0,0,1]
	global_store_b64 v[28:29], v[38:39], off
	s_wait_xcnt 0x0
	v_mov_b64_e32 v[28:29], v[30:31]
	s_cbranch_scc0 .LBB15_60
	s_branch .LBB15_58
.LBB15_61:                              ;   in Loop: Header=BB15_4 Depth=1
	s_or_b32 exec_lo, exec_lo, s47
.LBB15_62:                              ;   in Loop: Header=BB15_4 Depth=1
	s_mov_b32 s47, 0
.LBB15_63:                              ;   in Loop: Header=BB15_4 Depth=1
	s_delay_alu instid0(SALU_CYCLE_1)
	s_and_not1_b32 vcc_lo, exec_lo, s47
	s_cbranch_vccnz .LBB15_70
; %bb.64:                               ;   in Loop: Header=BB15_4 Depth=1
	s_and_saveexec_b32 s47, s1
	s_cbranch_execz .LBB15_69
; %bb.65:                               ;   in Loop: Header=BB15_4 Depth=1
	v_add_nc_u64_e32 v[22:23], s[62:63], v[12:13]
	v_mov_b32_e32 v24, v0
	s_lshl_b64 s[64:65], s[30:31], 3
	s_mov_b32 s70, 0
	s_add_nc_u64 s[64:65], s[56:57], s[64:65]
	s_branch .LBB15_67
.LBB15_66:                              ;   in Loop: Header=BB15_67 Depth=2
	v_add_nc_u32_e32 v24, s12, v24
	v_add_nc_u64_e32 v[22:23], s[50:51], v[22:23]
	s_wait_loadcnt 0x0
	global_store_b64 v[26:27], v[28:29], off offset:-8
	v_cmp_le_i32_e32 vcc_lo, s23, v24
	s_or_b32 s70, vcc_lo, s70
	s_wait_xcnt 0x0
	s_and_not1_b32 exec_lo, exec_lo, s70
	s_cbranch_execz .LBB15_69
.LBB15_67:                              ;   Parent Loop BB15_4 Depth=1
                                        ; =>  This Loop Header: Depth=2
                                        ;       Child Loop BB15_68 Depth 3
	v_ashrrev_i32_e32 v25, 31, v24
	v_mov_b64_e32 v[30:31], v[22:23]
	s_and_not1_b32 vcc_lo, exec_lo, s88
	s_mov_b64 s[66:67], s[60:61]
	s_mov_b64 s[68:69], s[58:59]
	v_mul_u64_e32 v[26:27], s[20:21], v[24:25]
	s_mov_b32 s71, s46
	s_delay_alu instid0(VALU_DEP_1)
	v_lshl_add_u64 v[26:27], v[26:27], 3, s[64:65]
	global_load_b64 v[28:29], v[26:27], off offset:-8
	s_cbranch_vccnz .LBB15_66
.LBB15_68:                              ;   Parent Loop BB15_4 Depth=1
                                        ;     Parent Loop BB15_67 Depth=2
                                        ; =>    This Inner Loop Header: Depth=3
	global_load_b64 v[32:33], v[30:31], off
	s_clause 0x1
	global_load_b32 v34, v1, s[68:69]
	global_load_b32 v36, v1, s[66:67]
	s_add_co_i32 s71, s71, -1
	s_wait_xcnt 0x1
	s_add_nc_u64 s[68:69], s[68:69], -4
	s_cmp_eq_u32 s71, 0
	s_wait_xcnt 0x0
	s_add_nc_u64 s[66:67], s[66:67], -4
	s_wait_loadcnt 0x1
	v_pk_mul_f32 v[38:39], v[34:35], v[32:33] op_sel_hi:[0,1]
	s_wait_loadcnt 0x0
	v_pk_mul_f32 v[32:33], v[36:37], v[32:33] op_sel_hi:[0,1]
	s_delay_alu instid0(VALU_DEP_2) | instskip(NEXT) | instid1(VALU_DEP_2)
	v_pk_fma_f32 v[38:39], v[28:29], v[36:37], v[38:39] op_sel_hi:[1,0,1]
	v_pk_fma_f32 v[28:29], v[28:29], v[34:35], v[32:33] op_sel_hi:[1,0,1] neg_lo:[0,0,1] neg_hi:[0,0,1]
	global_store_b64 v[30:31], v[38:39], off
	s_wait_xcnt 0x0
	v_add_nc_u64_e32 v[30:31], -8, v[30:31]
	s_cbranch_scc0 .LBB15_68
	s_branch .LBB15_66
.LBB15_69:                              ;   in Loop: Header=BB15_4 Depth=1
	s_or_b32 exec_lo, exec_lo, s47
.LBB15_70:                              ;   in Loop: Header=BB15_4 Depth=1
	s_mov_b32 s47, 0
.LBB15_71:                              ;   in Loop: Header=BB15_4 Depth=1
	s_delay_alu instid0(SALU_CYCLE_1)
	s_and_not1_b32 vcc_lo, exec_lo, s47
	s_cbranch_vccnz .LBB15_78
; %bb.72:                               ;   in Loop: Header=BB15_4 Depth=1
	s_and_saveexec_b32 s47, s1
	s_cbranch_execz .LBB15_77
; %bb.73:                               ;   in Loop: Header=BB15_4 Depth=1
	v_add_nc_u64_e32 v[22:23], s[62:63], v[10:11]
	v_mov_b32_e32 v24, v0
	s_lshl_b64 s[64:65], s[30:31], 3
	s_mov_b32 s70, 0
	s_add_nc_u64 s[64:65], s[56:57], s[64:65]
	s_branch .LBB15_75
.LBB15_74:                              ;   in Loop: Header=BB15_75 Depth=2
	v_add_nc_u32_e32 v24, s12, v24
	v_add_nc_u64_e32 v[22:23], s[50:51], v[22:23]
	s_wait_loadcnt 0x0
	global_store_b64 v[26:27], v[28:29], off offset:-8
	v_cmp_le_i32_e32 vcc_lo, s23, v24
	s_or_b32 s70, vcc_lo, s70
	s_wait_xcnt 0x0
	s_and_not1_b32 exec_lo, exec_lo, s70
	s_cbranch_execz .LBB15_77
.LBB15_75:                              ;   Parent Loop BB15_4 Depth=1
                                        ; =>  This Loop Header: Depth=2
                                        ;       Child Loop BB15_76 Depth 3
	v_ashrrev_i32_e32 v25, 31, v24
	v_mov_b64_e32 v[30:31], v[22:23]
	s_and_not1_b32 vcc_lo, exec_lo, s88
	s_mov_b64 s[66:67], s[54:55]
	s_mov_b64 s[68:69], s[52:53]
	v_mul_u64_e32 v[26:27], s[20:21], v[24:25]
	s_mov_b32 s71, s46
	s_delay_alu instid0(VALU_DEP_1)
	v_lshl_add_u64 v[26:27], v[26:27], 3, s[64:65]
	global_load_b64 v[28:29], v[26:27], off offset:-8
	s_cbranch_vccnz .LBB15_74
.LBB15_76:                              ;   Parent Loop BB15_4 Depth=1
                                        ;     Parent Loop BB15_75 Depth=2
                                        ; =>    This Inner Loop Header: Depth=3
	global_load_b64 v[32:33], v[30:31], off
	s_clause 0x1
	global_load_b32 v34, v1, s[68:69]
	global_load_b32 v36, v1, s[66:67]
	s_add_co_i32 s71, s71, -1
	s_wait_xcnt 0x1
	s_add_nc_u64 s[68:69], s[68:69], 4
	s_cmp_eq_u32 s71, 0
	s_wait_xcnt 0x0
	s_add_nc_u64 s[66:67], s[66:67], 4
	s_wait_loadcnt 0x1
	v_pk_mul_f32 v[38:39], v[34:35], v[32:33] op_sel_hi:[0,1]
	s_wait_loadcnt 0x0
	v_pk_mul_f32 v[32:33], v[36:37], v[32:33] op_sel_hi:[0,1]
	s_delay_alu instid0(VALU_DEP_2) | instskip(NEXT) | instid1(VALU_DEP_2)
	v_pk_fma_f32 v[38:39], v[28:29], v[36:37], v[38:39] op_sel_hi:[1,0,1]
	v_pk_fma_f32 v[28:29], v[28:29], v[34:35], v[32:33] op_sel_hi:[1,0,1] neg_lo:[0,0,1] neg_hi:[0,0,1]
	global_store_b64 v[30:31], v[38:39], off
	s_wait_xcnt 0x0
	v_add_nc_u64_e32 v[30:31], 8, v[30:31]
	s_cbranch_scc0 .LBB15_76
	s_branch .LBB15_74
.LBB15_77:                              ;   in Loop: Header=BB15_4 Depth=1
	s_or_b32 exec_lo, exec_lo, s47
.LBB15_78:                              ;   in Loop: Header=BB15_4 Depth=1
	s_mov_b32 s47, 0
.LBB15_79:                              ;   in Loop: Header=BB15_4 Depth=1
	s_delay_alu instid0(SALU_CYCLE_1)
	s_and_not1_b32 vcc_lo, exec_lo, s47
	s_cbranch_vccnz .LBB15_86
; %bb.80:                               ;   in Loop: Header=BB15_4 Depth=1
	s_and_saveexec_b32 s47, s1
	s_cbranch_execz .LBB15_85
; %bb.81:                               ;   in Loop: Header=BB15_4 Depth=1
	v_add_nc_u64_e32 v[22:23], s[62:63], v[14:15]
	v_mov_b32_e32 v24, v0
	s_mov_b32 s68, 0
	s_branch .LBB15_83
.LBB15_82:                              ;   in Loop: Header=BB15_83 Depth=2
	v_add_nc_u32_e32 v24, s12, v24
	v_add_nc_u64_e32 v[22:23], s[50:51], v[22:23]
	s_wait_loadcnt 0x0
	global_store_b64 v[26:27], v[28:29], off
	v_cmp_le_i32_e32 vcc_lo, s23, v24
	s_or_b32 s68, vcc_lo, s68
	s_wait_xcnt 0x0
	s_and_not1_b32 exec_lo, exec_lo, s68
	s_cbranch_execz .LBB15_85
.LBB15_83:                              ;   Parent Loop BB15_4 Depth=1
                                        ; =>  This Loop Header: Depth=2
                                        ;       Child Loop BB15_84 Depth 3
	s_delay_alu instid0(VALU_DEP_1) | instskip(NEXT) | instid1(VALU_DEP_3)
	v_ashrrev_i32_e32 v25, 31, v24
	v_mov_b64_e32 v[30:31], v[22:23]
	s_and_not1_b32 vcc_lo, exec_lo, s88
	s_mov_b64 s[64:65], s[60:61]
	s_mov_b64 s[66:67], s[58:59]
	v_mul_u64_e32 v[26:27], s[20:21], v[24:25]
	s_mov_b32 s69, s13
	s_delay_alu instid0(VALU_DEP_1)
	v_lshl_add_u64 v[26:27], v[26:27], 3, s[56:57]
	global_load_b64 v[28:29], v[26:27], off
	s_cbranch_vccnz .LBB15_82
.LBB15_84:                              ;   Parent Loop BB15_4 Depth=1
                                        ;     Parent Loop BB15_83 Depth=2
                                        ; =>    This Inner Loop Header: Depth=3
	s_clause 0x1
	global_load_b32 v32, v1, s[64:65]
	global_load_b32 v34, v1, s[66:67]
	global_load_b64 v[36:37], v[30:31], off
	s_add_co_i32 s69, s69, -1
	s_wait_xcnt 0x1
	s_add_nc_u64 s[66:67], s[66:67], -4
	s_cmp_lt_u32 s69, 3
	s_add_nc_u64 s[64:65], s[64:65], -4
	s_wait_loadcnt 0x2
	v_pk_mul_f32 v[38:39], v[28:29], v[32:33] op_sel_hi:[1,0]
	s_wait_loadcnt 0x0
	v_pk_mul_f32 v[32:33], v[32:33], v[36:37] op_sel_hi:[0,1]
	s_delay_alu instid0(VALU_DEP_2) | instskip(NEXT) | instid1(VALU_DEP_2)
	v_pk_fma_f32 v[38:39], v[34:35], v[36:37], v[38:39] op_sel_hi:[0,1,1] neg_lo:[0,0,1] neg_hi:[0,0,1]
	v_pk_fma_f32 v[28:29], v[28:29], v[34:35], v[32:33] op_sel_hi:[1,0,1]
	global_store_b64 v[30:31], v[38:39], off
	s_wait_xcnt 0x0
	v_add_nc_u64_e32 v[30:31], -8, v[30:31]
	s_cbranch_scc0 .LBB15_84
	s_branch .LBB15_82
.LBB15_85:                              ;   in Loop: Header=BB15_4 Depth=1
	s_or_b32 exec_lo, exec_lo, s47
.LBB15_86:                              ;   in Loop: Header=BB15_4 Depth=1
	s_mov_b32 s47, 0
.LBB15_87:                              ;   in Loop: Header=BB15_4 Depth=1
	s_delay_alu instid0(SALU_CYCLE_1)
	s_and_not1_b32 vcc_lo, exec_lo, s47
	s_cbranch_vccnz .LBB15_94
; %bb.88:                               ;   in Loop: Header=BB15_4 Depth=1
	s_and_saveexec_b32 s47, s1
	s_cbranch_execz .LBB15_93
; %bb.89:                               ;   in Loop: Header=BB15_4 Depth=1
	v_mov_b64_e32 v[22:23], v[20:21]
	v_mov_b32_e32 v24, v0
	s_mov_b32 s68, 0
	s_branch .LBB15_91
.LBB15_90:                              ;   in Loop: Header=BB15_91 Depth=2
	v_add_nc_u32_e32 v24, s12, v24
	v_add_nc_u64_e32 v[22:23], s[50:51], v[22:23]
	s_wait_loadcnt 0x0
	global_store_b64 v[26:27], v[28:29], off
	v_cmp_le_i32_e32 vcc_lo, s23, v24
	s_or_b32 s68, vcc_lo, s68
	s_wait_xcnt 0x0
	s_and_not1_b32 exec_lo, exec_lo, s68
	s_cbranch_execz .LBB15_93
.LBB15_91:                              ;   Parent Loop BB15_4 Depth=1
                                        ; =>  This Loop Header: Depth=2
                                        ;       Child Loop BB15_92 Depth 3
	s_delay_alu instid0(VALU_DEP_1) | instskip(NEXT) | instid1(VALU_DEP_3)
	v_ashrrev_i32_e32 v25, 31, v24
	v_mov_b64_e32 v[30:31], v[22:23]
	s_and_not1_b32 vcc_lo, exec_lo, s88
	s_mov_b32 s69, s46
	s_mov_b64 s[64:65], s[52:53]
	v_mul_u64_e32 v[26:27], s[20:21], v[24:25]
	s_mov_b64 s[66:67], s[54:55]
	s_delay_alu instid0(VALU_DEP_1)
	v_lshl_add_u64 v[26:27], v[26:27], 3, s[56:57]
	global_load_b64 v[28:29], v[26:27], off
	s_cbranch_vccnz .LBB15_90
.LBB15_92:                              ;   Parent Loop BB15_4 Depth=1
                                        ;     Parent Loop BB15_91 Depth=2
                                        ; =>    This Inner Loop Header: Depth=3
	s_clause 0x1
	global_load_b32 v32, v1, s[66:67]
	global_load_b32 v34, v1, s[64:65]
	global_load_b64 v[36:37], v[30:31], off
	s_add_co_i32 s69, s69, -1
	s_wait_xcnt 0x2
	s_add_nc_u64 s[66:67], s[66:67], 4
	s_cmp_eq_u32 s69, 0
	s_wait_xcnt 0x1
	s_add_nc_u64 s[64:65], s[64:65], 4
	s_wait_loadcnt 0x2
	v_pk_mul_f32 v[38:39], v[28:29], v[32:33] op_sel_hi:[1,0]
	s_wait_loadcnt 0x0
	v_pk_mul_f32 v[32:33], v[32:33], v[36:37] op_sel_hi:[0,1]
	s_delay_alu instid0(VALU_DEP_2) | instskip(NEXT) | instid1(VALU_DEP_2)
	v_pk_fma_f32 v[38:39], v[34:35], v[36:37], v[38:39] op_sel_hi:[0,1,1] neg_lo:[0,0,1] neg_hi:[0,0,1]
	v_pk_fma_f32 v[28:29], v[28:29], v[34:35], v[32:33] op_sel_hi:[1,0,1]
	global_store_b64 v[30:31], v[38:39], off
	s_wait_xcnt 0x0
	v_add_nc_u64_e32 v[30:31], 8, v[30:31]
	s_cbranch_scc0 .LBB15_92
	s_branch .LBB15_90
.LBB15_93:                              ;   in Loop: Header=BB15_4 Depth=1
	s_or_b32 exec_lo, exec_lo, s47
.LBB15_94:                              ;   in Loop: Header=BB15_4 Depth=1
	s_mov_b32 s47, 0
.LBB15_95:                              ;   in Loop: Header=BB15_4 Depth=1
	s_delay_alu instid0(SALU_CYCLE_1)
	s_and_not1_b32 vcc_lo, exec_lo, s47
	s_cbranch_vccnz .LBB15_102
; %bb.96:                               ;   in Loop: Header=BB15_4 Depth=1
	s_and_saveexec_b32 s47, s1
	s_cbranch_execz .LBB15_101
; %bb.97:                               ;   in Loop: Header=BB15_4 Depth=1
	v_add_nc_u64_e32 v[22:23], s[62:63], v[18:19]
	v_mov_b32_e32 v24, v0
	s_lshl_b64 s[62:63], s[30:31], 3
	s_mov_b32 s68, 0
	s_add_nc_u64 s[62:63], s[56:57], s[62:63]
	s_branch .LBB15_99
.LBB15_98:                              ;   in Loop: Header=BB15_99 Depth=2
	v_add_nc_u32_e32 v24, s12, v24
	v_add_nc_u64_e32 v[22:23], s[50:51], v[22:23]
	v_lshl_add_u64 v[26:27], v[26:27], 3, s[56:57]
	s_delay_alu instid0(VALU_DEP_3)
	v_cmp_le_i32_e32 vcc_lo, s23, v24
	s_wait_loadcnt 0x0
	global_store_b64 v[26:27], v[28:29], off
	s_or_b32 s68, vcc_lo, s68
	s_wait_xcnt 0x0
	s_and_not1_b32 exec_lo, exec_lo, s68
	s_cbranch_execz .LBB15_101
.LBB15_99:                              ;   Parent Loop BB15_4 Depth=1
                                        ; =>  This Loop Header: Depth=2
                                        ;       Child Loop BB15_100 Depth 3
	v_ashrrev_i32_e32 v25, 31, v24
	v_mov_b64_e32 v[30:31], v[22:23]
	s_and_not1_b32 vcc_lo, exec_lo, s88
	s_mov_b64 s[64:65], s[60:61]
	s_mov_b64 s[66:67], s[58:59]
	v_mul_u64_e32 v[26:27], s[20:21], v[24:25]
	s_mov_b32 s69, s46
	s_delay_alu instid0(VALU_DEP_1)
	v_lshl_add_u64 v[28:29], v[26:27], 3, s[62:63]
	global_load_b64 v[28:29], v[28:29], off offset:-8
	s_cbranch_vccnz .LBB15_98
.LBB15_100:                             ;   Parent Loop BB15_4 Depth=1
                                        ;     Parent Loop BB15_99 Depth=2
                                        ; =>    This Inner Loop Header: Depth=3
	global_load_b64 v[32:33], v[30:31], off offset:-8
	s_clause 0x1
	global_load_b32 v34, v1, s[64:65]
	global_load_b32 v36, v1, s[66:67]
	v_add_nc_u64_e32 v[40:41], -8, v[30:31]
	s_add_co_i32 s69, s69, -1
	s_wait_xcnt 0x0
	s_add_nc_u64 s[66:67], s[66:67], -4
	s_cmp_eq_u32 s69, 0
	s_add_nc_u64 s[64:65], s[64:65], -4
	s_wait_loadcnt 0x1
	v_pk_mul_f32 v[38:39], v[34:35], v[32:33] op_sel_hi:[0,1]
	s_wait_loadcnt 0x0
	v_pk_mul_f32 v[32:33], v[36:37], v[32:33] op_sel_hi:[0,1]
	s_delay_alu instid0(VALU_DEP_2) | instskip(NEXT) | instid1(VALU_DEP_2)
	v_pk_fma_f32 v[36:37], v[28:29], v[36:37], v[38:39] op_sel_hi:[1,0,1] neg_lo:[0,0,1] neg_hi:[0,0,1]
	v_pk_fma_f32 v[28:29], v[28:29], v[34:35], v[32:33] op_sel_hi:[1,0,1]
	global_store_b64 v[30:31], v[36:37], off
	s_wait_xcnt 0x0
	v_mov_b64_e32 v[30:31], v[40:41]
	s_cbranch_scc0 .LBB15_100
	s_branch .LBB15_98
.LBB15_101:                             ;   in Loop: Header=BB15_4 Depth=1
	s_or_b32 exec_lo, exec_lo, s47
.LBB15_102:                             ;   in Loop: Header=BB15_4 Depth=1
	s_cbranch_execnz .LBB15_3
.LBB15_103:                             ;   in Loop: Header=BB15_4 Depth=1
	s_and_saveexec_b32 s47, s1
	s_cbranch_execz .LBB15_2
; %bb.104:                              ;   in Loop: Header=BB15_4 Depth=1
	v_mov_b32_e32 v22, v0
	s_lshl_b64 s[58:59], s[30:31], 3
	s_mov_b32 s64, 0
	s_add_nc_u64 s[58:59], s[56:57], s[58:59]
	s_branch .LBB15_106
.LBB15_105:                             ;   in Loop: Header=BB15_106 Depth=2
	v_add_nc_u32_e32 v22, s12, v22
	v_add_nc_u64_e32 v[20:21], s[50:51], v[20:21]
	v_lshl_add_u64 v[24:25], v[24:25], 3, s[58:59]
	s_delay_alu instid0(VALU_DEP_3)
	v_cmp_le_i32_e32 vcc_lo, s23, v22
	s_wait_loadcnt 0x0
	global_store_b64 v[24:25], v[26:27], off offset:-8
	s_or_b32 s64, vcc_lo, s64
	s_wait_xcnt 0x0
	s_and_not1_b32 exec_lo, exec_lo, s64
	s_cbranch_execz .LBB15_2
.LBB15_106:                             ;   Parent Loop BB15_4 Depth=1
                                        ; =>  This Loop Header: Depth=2
                                        ;       Child Loop BB15_107 Depth 3
	v_ashrrev_i32_e32 v23, 31, v22
	v_mov_b64_e32 v[28:29], v[20:21]
	s_and_not1_b32 vcc_lo, exec_lo, s88
	s_mov_b64 s[60:61], s[54:55]
	s_mov_b64 s[62:63], s[52:53]
	v_mul_u64_e32 v[24:25], s[20:21], v[22:23]
	s_mov_b32 s65, s46
	s_delay_alu instid0(VALU_DEP_1)
	v_lshl_add_u64 v[26:27], v[24:25], 3, s[56:57]
	global_load_b64 v[26:27], v[26:27], off
	s_cbranch_vccnz .LBB15_105
.LBB15_107:                             ;   Parent Loop BB15_4 Depth=1
                                        ;     Parent Loop BB15_106 Depth=2
                                        ; =>    This Inner Loop Header: Depth=3
	global_load_b64 v[30:31], v[28:29], off
	s_clause 0x1
	global_load_b32 v32, v1, s[60:61]
	global_load_b32 v34, v1, s[62:63]
	s_add_co_i32 s65, s65, -1
	s_wait_xcnt 0x0
	s_add_nc_u64 s[62:63], s[62:63], 4
	s_cmp_eq_u32 s65, 0
	s_add_nc_u64 s[60:61], s[60:61], 4
	s_wait_loadcnt 0x1
	v_pk_mul_f32 v[36:37], v[32:33], v[30:31] op_sel_hi:[0,1]
	s_wait_loadcnt 0x0
	s_delay_alu instid0(VALU_DEP_1)
	v_pk_fma_f32 v[36:37], v[26:27], v[34:35], v[36:37] op_sel_hi:[1,0,1]
	v_pk_mul_f32 v[26:27], v[26:27], v[32:33] op_sel_hi:[1,0]
	global_store_b64 v[28:29], v[36:37], off offset:-8
	s_wait_xcnt 0x0
	v_add_nc_u64_e32 v[28:29], 8, v[28:29]
	v_pk_fma_f32 v[26:27], v[34:35], v[30:31], v[26:27] op_sel_hi:[0,1,1] neg_lo:[0,0,1] neg_hi:[0,0,1]
	s_cbranch_scc0 .LBB15_107
	s_branch .LBB15_105
.LBB15_108:
	s_endpgm
	.section	.rodata,"a",@progbits
	.p2align	6, 0x0
	.amdhsa_kernel _ZN9rocsolver6v33100L11lasr_kernelI19rocblas_complex_numIfEfPS3_iEEv13rocblas_side_14rocblas_pivot_15rocblas_direct_T2_S8_PT0_lSA_lT1_lS8_lS8_
		.amdhsa_group_segment_fixed_size 0
		.amdhsa_private_segment_fixed_size 0
		.amdhsa_kernarg_size 352
		.amdhsa_user_sgpr_count 2
		.amdhsa_user_sgpr_dispatch_ptr 0
		.amdhsa_user_sgpr_queue_ptr 0
		.amdhsa_user_sgpr_kernarg_segment_ptr 1
		.amdhsa_user_sgpr_dispatch_id 0
		.amdhsa_user_sgpr_kernarg_preload_length 0
		.amdhsa_user_sgpr_kernarg_preload_offset 0
		.amdhsa_user_sgpr_private_segment_size 0
		.amdhsa_wavefront_size32 1
		.amdhsa_uses_dynamic_stack 0
		.amdhsa_enable_private_segment 0
		.amdhsa_system_sgpr_workgroup_id_x 1
		.amdhsa_system_sgpr_workgroup_id_y 0
		.amdhsa_system_sgpr_workgroup_id_z 1
		.amdhsa_system_sgpr_workgroup_info 0
		.amdhsa_system_vgpr_workitem_id 0
		.amdhsa_next_free_vgpr 44
		.amdhsa_next_free_sgpr 91
		.amdhsa_named_barrier_count 0
		.amdhsa_reserve_vcc 1
		.amdhsa_float_round_mode_32 0
		.amdhsa_float_round_mode_16_64 0
		.amdhsa_float_denorm_mode_32 3
		.amdhsa_float_denorm_mode_16_64 3
		.amdhsa_fp16_overflow 0
		.amdhsa_memory_ordered 1
		.amdhsa_forward_progress 1
		.amdhsa_inst_pref_size 34
		.amdhsa_round_robin_scheduling 0
		.amdhsa_exception_fp_ieee_invalid_op 0
		.amdhsa_exception_fp_denorm_src 0
		.amdhsa_exception_fp_ieee_div_zero 0
		.amdhsa_exception_fp_ieee_overflow 0
		.amdhsa_exception_fp_ieee_underflow 0
		.amdhsa_exception_fp_ieee_inexact 0
		.amdhsa_exception_int_div_zero 0
	.end_amdhsa_kernel
	.section	.text._ZN9rocsolver6v33100L11lasr_kernelI19rocblas_complex_numIfEfPS3_iEEv13rocblas_side_14rocblas_pivot_15rocblas_direct_T2_S8_PT0_lSA_lT1_lS8_lS8_,"axG",@progbits,_ZN9rocsolver6v33100L11lasr_kernelI19rocblas_complex_numIfEfPS3_iEEv13rocblas_side_14rocblas_pivot_15rocblas_direct_T2_S8_PT0_lSA_lT1_lS8_lS8_,comdat
.Lfunc_end15:
	.size	_ZN9rocsolver6v33100L11lasr_kernelI19rocblas_complex_numIfEfPS3_iEEv13rocblas_side_14rocblas_pivot_15rocblas_direct_T2_S8_PT0_lSA_lT1_lS8_lS8_, .Lfunc_end15-_ZN9rocsolver6v33100L11lasr_kernelI19rocblas_complex_numIfEfPS3_iEEv13rocblas_side_14rocblas_pivot_15rocblas_direct_T2_S8_PT0_lSA_lT1_lS8_lS8_
                                        ; -- End function
	.set _ZN9rocsolver6v33100L11lasr_kernelI19rocblas_complex_numIfEfPS3_iEEv13rocblas_side_14rocblas_pivot_15rocblas_direct_T2_S8_PT0_lSA_lT1_lS8_lS8_.num_vgpr, 44
	.set _ZN9rocsolver6v33100L11lasr_kernelI19rocblas_complex_numIfEfPS3_iEEv13rocblas_side_14rocblas_pivot_15rocblas_direct_T2_S8_PT0_lSA_lT1_lS8_lS8_.num_agpr, 0
	.set _ZN9rocsolver6v33100L11lasr_kernelI19rocblas_complex_numIfEfPS3_iEEv13rocblas_side_14rocblas_pivot_15rocblas_direct_T2_S8_PT0_lSA_lT1_lS8_lS8_.numbered_sgpr, 91
	.set _ZN9rocsolver6v33100L11lasr_kernelI19rocblas_complex_numIfEfPS3_iEEv13rocblas_side_14rocblas_pivot_15rocblas_direct_T2_S8_PT0_lSA_lT1_lS8_lS8_.num_named_barrier, 0
	.set _ZN9rocsolver6v33100L11lasr_kernelI19rocblas_complex_numIfEfPS3_iEEv13rocblas_side_14rocblas_pivot_15rocblas_direct_T2_S8_PT0_lSA_lT1_lS8_lS8_.private_seg_size, 0
	.set _ZN9rocsolver6v33100L11lasr_kernelI19rocblas_complex_numIfEfPS3_iEEv13rocblas_side_14rocblas_pivot_15rocblas_direct_T2_S8_PT0_lSA_lT1_lS8_lS8_.uses_vcc, 1
	.set _ZN9rocsolver6v33100L11lasr_kernelI19rocblas_complex_numIfEfPS3_iEEv13rocblas_side_14rocblas_pivot_15rocblas_direct_T2_S8_PT0_lSA_lT1_lS8_lS8_.uses_flat_scratch, 0
	.set _ZN9rocsolver6v33100L11lasr_kernelI19rocblas_complex_numIfEfPS3_iEEv13rocblas_side_14rocblas_pivot_15rocblas_direct_T2_S8_PT0_lSA_lT1_lS8_lS8_.has_dyn_sized_stack, 0
	.set _ZN9rocsolver6v33100L11lasr_kernelI19rocblas_complex_numIfEfPS3_iEEv13rocblas_side_14rocblas_pivot_15rocblas_direct_T2_S8_PT0_lSA_lT1_lS8_lS8_.has_recursion, 0
	.set _ZN9rocsolver6v33100L11lasr_kernelI19rocblas_complex_numIfEfPS3_iEEv13rocblas_side_14rocblas_pivot_15rocblas_direct_T2_S8_PT0_lSA_lT1_lS8_lS8_.has_indirect_call, 0
	.section	.AMDGPU.csdata,"",@progbits
; Kernel info:
; codeLenInByte = 4292
; TotalNumSgprs: 93
; NumVgprs: 44
; ScratchSize: 0
; MemoryBound: 0
; FloatMode: 240
; IeeeMode: 1
; LDSByteSize: 0 bytes/workgroup (compile time only)
; SGPRBlocks: 0
; VGPRBlocks: 2
; NumSGPRsForWavesPerEU: 93
; NumVGPRsForWavesPerEU: 44
; NamedBarCnt: 0
; Occupancy: 16
; WaveLimiterHint : 0
; COMPUTE_PGM_RSRC2:SCRATCH_EN: 0
; COMPUTE_PGM_RSRC2:USER_SGPR: 2
; COMPUTE_PGM_RSRC2:TRAP_HANDLER: 0
; COMPUTE_PGM_RSRC2:TGID_X_EN: 1
; COMPUTE_PGM_RSRC2:TGID_Y_EN: 0
; COMPUTE_PGM_RSRC2:TGID_Z_EN: 1
; COMPUTE_PGM_RSRC2:TIDIG_COMP_CNT: 0
	.section	.text._ZN9rocsolver6v33100L11swap_kernelI19rocblas_complex_numIfEiEEvT0_PT_S4_S6_S4_,"axG",@progbits,_ZN9rocsolver6v33100L11swap_kernelI19rocblas_complex_numIfEiEEvT0_PT_S4_S6_S4_,comdat
	.globl	_ZN9rocsolver6v33100L11swap_kernelI19rocblas_complex_numIfEiEEvT0_PT_S4_S6_S4_ ; -- Begin function _ZN9rocsolver6v33100L11swap_kernelI19rocblas_complex_numIfEiEEvT0_PT_S4_S6_S4_
	.p2align	8
	.type	_ZN9rocsolver6v33100L11swap_kernelI19rocblas_complex_numIfEiEEvT0_PT_S4_S6_S4_,@function
_ZN9rocsolver6v33100L11swap_kernelI19rocblas_complex_numIfEiEEvT0_PT_S4_S6_S4_: ; @_ZN9rocsolver6v33100L11swap_kernelI19rocblas_complex_numIfEiEEvT0_PT_S4_S6_S4_
; %bb.0:
	s_load_b32 s12, s[0:1], 0x0
	s_wait_kmcnt 0x0
	s_cmp_lt_i32 s12, 1
	s_cbranch_scc1 .LBB16_10
; %bb.1:
	s_clause 0x2
	s_load_b32 s2, s[0:1], 0x34
	s_load_b96 s[4:6], s[0:1], 0x8
	s_load_b96 s[8:10], s[0:1], 0x18
	s_bfe_u32 s3, ttmp6, 0x4000c
	s_wait_xcnt 0x0
	s_load_b32 s0, s[0:1], 0x28
	s_add_co_i32 s3, s3, 1
	s_wait_xcnt 0x0
	s_and_b32 s1, ttmp6, 15
	s_mul_i32 s3, ttmp9, s3
	s_getreg_b32 s7, hwreg(HW_REG_IB_STS2, 6, 4)
	s_add_co_i32 s1, s1, s3
	s_wait_kmcnt 0x0
	s_and_b32 s2, s2, 0xffff
	s_cmp_eq_u32 s7, 0
	s_cselect_b32 s1, ttmp9, s1
	s_cmp_eq_u32 s6, 1
	v_mad_u32 v0, s1, s2, v0
	s_cselect_b32 s1, -1, 0
	s_cmp_eq_u32 s10, 1
	s_mul_i32 s2, s0, s2
	s_cselect_b32 s3, -1, 0
	s_delay_alu instid0(SALU_CYCLE_1) | instskip(NEXT) | instid1(SALU_CYCLE_1)
	s_and_b32 s1, s1, s3
	s_and_b32 vcc_lo, exec_lo, s1
	s_mov_b32 s1, -1
	s_delay_alu instid0(VALU_DEP_1)
	v_cmp_gt_i32_e64 s0, s12, v0
	s_cbranch_vccnz .LBB16_6
; %bb.2:
	s_and_saveexec_b32 s1, s0
	s_cbranch_execz .LBB16_5
; %bb.3:
	v_ashrrev_i32_e32 v1, 31, v0
	s_ashr_i32 s7, s6, 31
	s_ashr_i32 s11, s10, 31
	;; [unrolled: 1-line block ×3, first 2 shown]
	s_delay_alu instid0(SALU_CYCLE_1)
	s_mul_u64 s[14:15], s[6:7], s[2:3]
	v_mul_u64_e32 v[2:3], s[10:11], v[0:1]
	v_mul_u64_e32 v[4:5], s[6:7], v[0:1]
	v_mov_b32_e32 v1, v0
	s_mul_u64 s[10:11], s[10:11], s[2:3]
	s_mov_b32 s3, 0
	s_lshl_b64 s[6:7], s[10:11], 3
	s_lshl_b64 s[10:11], s[14:15], 3
	s_delay_alu instid0(VALU_DEP_3) | instskip(NEXT) | instid1(VALU_DEP_3)
	v_lshl_add_u64 v[2:3], v[2:3], 3, s[8:9]
	v_lshl_add_u64 v[4:5], v[4:5], 3, s[4:5]
.LBB16_4:                               ; =>This Inner Loop Header: Depth=1
	global_load_b64 v[6:7], v[4:5], off
	global_load_b64 v[8:9], v[2:3], off
	v_add_nc_u32_e32 v1, s2, v1
	s_wait_loadcnt 0x1
	global_store_b64 v[2:3], v[6:7], off
	s_wait_loadcnt 0x0
	global_store_b64 v[4:5], v[8:9], off
	v_cmp_le_i32_e32 vcc_lo, s12, v1
	s_wait_xcnt 0x1
	v_add_nc_u64_e32 v[2:3], s[6:7], v[2:3]
	s_wait_xcnt 0x0
	v_add_nc_u64_e32 v[4:5], s[10:11], v[4:5]
	s_or_b32 s3, vcc_lo, s3
	s_delay_alu instid0(SALU_CYCLE_1)
	s_and_not1_b32 exec_lo, exec_lo, s3
	s_cbranch_execnz .LBB16_4
.LBB16_5:
	s_or_b32 exec_lo, exec_lo, s1
	s_mov_b32 s1, 0
.LBB16_6:
	s_delay_alu instid0(SALU_CYCLE_1)
	s_and_not1_b32 vcc_lo, exec_lo, s1
	s_cbranch_vccnz .LBB16_10
; %bb.7:
	s_and_saveexec_b32 s1, s0
	s_cbranch_execz .LBB16_10
; %bb.8:
	v_ashrrev_i32_e32 v1, 31, v0
	s_ashr_i32 s3, s2, 31
	s_delay_alu instid0(SALU_CYCLE_1) | instskip(SKIP_1) | instid1(VALU_DEP_1)
	s_lshl_b64 s[0:1], s[2:3], 3
	s_mov_b32 s3, 0
	v_lshlrev_b64_e32 v[2:3], 3, v[0:1]
.LBB16_9:                               ; =>This Inner Loop Header: Depth=1
	s_delay_alu instid0(VALU_DEP_1)
	v_add_nc_u64_e32 v[4:5], s[4:5], v[2:3]
	v_add_nc_u64_e32 v[6:7], s[8:9], v[2:3]
	v_add_nc_u32_e32 v0, s2, v0
	v_add_nc_u64_e32 v[2:3], s[0:1], v[2:3]
	global_load_b64 v[8:9], v[4:5], off
	global_load_b64 v[10:11], v[6:7], off
	v_cmp_le_i32_e32 vcc_lo, s12, v0
	s_wait_loadcnt 0x1
	global_store_b64 v[6:7], v[8:9], off
	s_wait_loadcnt 0x0
	global_store_b64 v[4:5], v[10:11], off
	s_or_b32 s3, vcc_lo, s3
	s_wait_xcnt 0x0
	s_and_not1_b32 exec_lo, exec_lo, s3
	s_cbranch_execnz .LBB16_9
.LBB16_10:
	s_endpgm
	.section	.rodata,"a",@progbits
	.p2align	6, 0x0
	.amdhsa_kernel _ZN9rocsolver6v33100L11swap_kernelI19rocblas_complex_numIfEiEEvT0_PT_S4_S6_S4_
		.amdhsa_group_segment_fixed_size 0
		.amdhsa_private_segment_fixed_size 0
		.amdhsa_kernarg_size 296
		.amdhsa_user_sgpr_count 2
		.amdhsa_user_sgpr_dispatch_ptr 0
		.amdhsa_user_sgpr_queue_ptr 0
		.amdhsa_user_sgpr_kernarg_segment_ptr 1
		.amdhsa_user_sgpr_dispatch_id 0
		.amdhsa_user_sgpr_kernarg_preload_length 0
		.amdhsa_user_sgpr_kernarg_preload_offset 0
		.amdhsa_user_sgpr_private_segment_size 0
		.amdhsa_wavefront_size32 1
		.amdhsa_uses_dynamic_stack 0
		.amdhsa_enable_private_segment 0
		.amdhsa_system_sgpr_workgroup_id_x 1
		.amdhsa_system_sgpr_workgroup_id_y 0
		.amdhsa_system_sgpr_workgroup_id_z 0
		.amdhsa_system_sgpr_workgroup_info 0
		.amdhsa_system_vgpr_workitem_id 0
		.amdhsa_next_free_vgpr 12
		.amdhsa_next_free_sgpr 16
		.amdhsa_named_barrier_count 0
		.amdhsa_reserve_vcc 1
		.amdhsa_float_round_mode_32 0
		.amdhsa_float_round_mode_16_64 0
		.amdhsa_float_denorm_mode_32 3
		.amdhsa_float_denorm_mode_16_64 3
		.amdhsa_fp16_overflow 0
		.amdhsa_memory_ordered 1
		.amdhsa_forward_progress 1
		.amdhsa_inst_pref_size 4
		.amdhsa_round_robin_scheduling 0
		.amdhsa_exception_fp_ieee_invalid_op 0
		.amdhsa_exception_fp_denorm_src 0
		.amdhsa_exception_fp_ieee_div_zero 0
		.amdhsa_exception_fp_ieee_overflow 0
		.amdhsa_exception_fp_ieee_underflow 0
		.amdhsa_exception_fp_ieee_inexact 0
		.amdhsa_exception_int_div_zero 0
	.end_amdhsa_kernel
	.section	.text._ZN9rocsolver6v33100L11swap_kernelI19rocblas_complex_numIfEiEEvT0_PT_S4_S6_S4_,"axG",@progbits,_ZN9rocsolver6v33100L11swap_kernelI19rocblas_complex_numIfEiEEvT0_PT_S4_S6_S4_,comdat
.Lfunc_end16:
	.size	_ZN9rocsolver6v33100L11swap_kernelI19rocblas_complex_numIfEiEEvT0_PT_S4_S6_S4_, .Lfunc_end16-_ZN9rocsolver6v33100L11swap_kernelI19rocblas_complex_numIfEiEEvT0_PT_S4_S6_S4_
                                        ; -- End function
	.set _ZN9rocsolver6v33100L11swap_kernelI19rocblas_complex_numIfEiEEvT0_PT_S4_S6_S4_.num_vgpr, 12
	.set _ZN9rocsolver6v33100L11swap_kernelI19rocblas_complex_numIfEiEEvT0_PT_S4_S6_S4_.num_agpr, 0
	.set _ZN9rocsolver6v33100L11swap_kernelI19rocblas_complex_numIfEiEEvT0_PT_S4_S6_S4_.numbered_sgpr, 16
	.set _ZN9rocsolver6v33100L11swap_kernelI19rocblas_complex_numIfEiEEvT0_PT_S4_S6_S4_.num_named_barrier, 0
	.set _ZN9rocsolver6v33100L11swap_kernelI19rocblas_complex_numIfEiEEvT0_PT_S4_S6_S4_.private_seg_size, 0
	.set _ZN9rocsolver6v33100L11swap_kernelI19rocblas_complex_numIfEiEEvT0_PT_S4_S6_S4_.uses_vcc, 1
	.set _ZN9rocsolver6v33100L11swap_kernelI19rocblas_complex_numIfEiEEvT0_PT_S4_S6_S4_.uses_flat_scratch, 0
	.set _ZN9rocsolver6v33100L11swap_kernelI19rocblas_complex_numIfEiEEvT0_PT_S4_S6_S4_.has_dyn_sized_stack, 0
	.set _ZN9rocsolver6v33100L11swap_kernelI19rocblas_complex_numIfEiEEvT0_PT_S4_S6_S4_.has_recursion, 0
	.set _ZN9rocsolver6v33100L11swap_kernelI19rocblas_complex_numIfEiEEvT0_PT_S4_S6_S4_.has_indirect_call, 0
	.section	.AMDGPU.csdata,"",@progbits
; Kernel info:
; codeLenInByte = 500
; TotalNumSgprs: 18
; NumVgprs: 12
; ScratchSize: 0
; MemoryBound: 0
; FloatMode: 240
; IeeeMode: 1
; LDSByteSize: 0 bytes/workgroup (compile time only)
; SGPRBlocks: 0
; VGPRBlocks: 0
; NumSGPRsForWavesPerEU: 18
; NumVGPRsForWavesPerEU: 12
; NamedBarCnt: 0
; Occupancy: 16
; WaveLimiterHint : 0
; COMPUTE_PGM_RSRC2:SCRATCH_EN: 0
; COMPUTE_PGM_RSRC2:USER_SGPR: 2
; COMPUTE_PGM_RSRC2:TRAP_HANDLER: 0
; COMPUTE_PGM_RSRC2:TGID_X_EN: 1
; COMPUTE_PGM_RSRC2:TGID_Y_EN: 0
; COMPUTE_PGM_RSRC2:TGID_Z_EN: 0
; COMPUTE_PGM_RSRC2:TIDIG_COMP_CNT: 0
	.section	.text._ZN9rocsolver6v33100L12steqr_kernelI19rocblas_complex_numIfEfPS3_EEviPT0_lS6_lT1_iilPiS6_iS5_S5_S5_,"axG",@progbits,_ZN9rocsolver6v33100L12steqr_kernelI19rocblas_complex_numIfEfPS3_EEviPT0_lS6_lT1_iilPiS6_iS5_S5_S5_,comdat
	.globl	_ZN9rocsolver6v33100L12steqr_kernelI19rocblas_complex_numIfEfPS3_EEviPT0_lS6_lT1_iilPiS6_iS5_S5_S5_ ; -- Begin function _ZN9rocsolver6v33100L12steqr_kernelI19rocblas_complex_numIfEfPS3_EEviPT0_lS6_lT1_iilPiS6_iS5_S5_S5_
	.p2align	8
	.type	_ZN9rocsolver6v33100L12steqr_kernelI19rocblas_complex_numIfEfPS3_EEviPT0_lS6_lT1_iilPiS6_iS5_S5_S5_,@function
_ZN9rocsolver6v33100L12steqr_kernelI19rocblas_complex_numIfEfPS3_EEviPT0_lS6_lT1_iilPiS6_iS5_S5_S5_: ; @_ZN9rocsolver6v33100L12steqr_kernelI19rocblas_complex_numIfEfPS3_EEviPT0_lS6_lT1_iilPiS6_iS5_S5_S5_
; %bb.0:
	s_clause 0x1
	s_load_b32 s2, s[0:1], 0x6c
	s_load_b32 s3, s[0:1], 0x60
	s_bfe_u32 s4, ttmp6, 0x4000c
	s_and_b32 s5, ttmp6, 15
	s_add_co_i32 s6, s4, 1
	s_getreg_b32 s4, hwreg(HW_REG_IB_STS2, 6, 4)
	s_mul_i32 s6, ttmp9, s6
	s_delay_alu instid0(SALU_CYCLE_1) | instskip(SKIP_4) | instid1(SALU_CYCLE_1)
	s_add_co_i32 s5, s5, s6
	s_wait_kmcnt 0x0
	s_and_b32 s7, s2, 0xffff
	s_cmp_eq_u32 s4, 0
	s_cselect_b32 s2, ttmp9, s5
	v_mad_u32 v0, s2, s7, v0
	s_delay_alu instid0(VALU_DEP_1)
	v_cmp_eq_u32_e64 s2, 0, v0
	s_and_saveexec_b32 s5, s2
; %bb.1:
	v_mov_b32_e32 v1, 0
	ds_store_2addr_b32 v1, v1, v1 offset0:3 offset1:7
; %bb.2:
	s_or_b32 exec_lo, exec_lo, s5
	v_mov_b32_e32 v48, 0
	s_load_b32 s6, s[0:1], 0x0
	s_wait_dscnt 0x0
	s_barrier_signal -1
	s_barrier_wait -1
	ds_load_2addr_b32 v[2:3], v48 offset0:3 offset1:7
	s_clause 0x1
	s_load_b128 s[24:27], s[0:1], 0x50
	s_load_b256 s[16:23], s[0:1], 0x8
	s_bfe_u32 s5, ttmp6, 0x40010
	s_bfe_u32 s28, ttmp6, 0x40004
	s_add_co_i32 s5, s5, 1
	s_load_b256 s[8:15], s[0:1], 0x28
	s_mul_i32 s5, ttmp7, s5
	s_mul_i32 s30, s3, s7
	s_add_co_i32 s28, s28, s5
	s_cmp_eq_u32 s4, 0
	s_load_b64 s[4:5], s[0:1], 0x48
	s_cselect_b32 s36, ttmp7, s28
	s_delay_alu instid0(SALU_CYCLE_1)
	s_ashr_i32 s37, s36, 31
	s_wait_kmcnt 0x0
	s_add_co_i32 s34, s6, -1
	s_wait_dscnt 0x0
	v_cmp_gt_i32_e32 vcc_lo, s6, v2
	v_cmp_gt_i32_e64 s0, s24, v3
	s_mul_u64 s[18:19], s[18:19], s[36:37]
	v_readfirstlane_b32 s70, v2
	s_lshl_b64 s[28:29], s[18:19], 2
	s_mul_u64 s[38:39], s[22:23], s[36:37]
	s_and_b32 s0, vcc_lo, s0
	s_add_nc_u64 s[18:19], s[16:17], s[28:29]
	s_ashr_i32 s23, s10, 31
	s_mov_b32 s22, s10
	s_mul_u64 s[12:13], s[12:13], s[36:37]
	s_and_not1_b32 vcc_lo, exec_lo, s0
	s_cbranch_vccnz .LBB17_229
; %bb.3:
	s_lshl_b32 s0, s6, 1
	s_ashr_i32 s7, s6, 31
	s_ashr_i32 s1, s0, 31
	s_lshl_b64 s[62:63], s[6:7], 2
	s_mul_u64 s[0:1], s[0:1], s[36:37]
	s_lshl_b64 s[58:59], s[12:13], 3
	s_lshl_b64 s[52:53], s[0:1], 2
	;; [unrolled: 1-line block ×3, first 2 shown]
	s_add_nc_u64 s[44:45], s[4:5], s[52:53]
	s_add_nc_u64 s[52:53], s[52:53], s[62:63]
	v_dual_ashrrev_i32 v1, 31, v0 :: v_dual_mov_b32 v7, 2.0
	s_add_nc_u64 s[4:5], s[4:5], s[52:53]
	v_mov_b64_e32 v[4:5], 0xbf0000003f000000
	s_add_nc_u64 s[54:55], s[4:5], -8
	s_add_nc_u64 s[4:5], s[58:59], s[60:61]
	s_lshl_b64 s[40:41], s[38:39], 2
	s_add_nc_u64 s[4:5], s[8:9], s[4:5]
	s_add_nc_u64 s[42:43], s[8:9], s[58:59]
	s_ashr_i32 s47, s11, 31
	s_mov_b32 s46, s11
	v_cmp_gt_i32_e64 s0, s6, v0
	v_lshl_add_u64 v[2:3], v[0:1], 3, s[4:5]
	s_add_nc_u64 s[40:41], s[20:21], s[40:41]
	s_add_nc_u64 s[42:43], s[42:43], s[60:61]
	s_mul_f32 s10, s25, s25
	s_add_nc_u64 s[48:49], s[16:17], s[28:29]
	s_ashr_i32 s31, s30, 31
	s_add_nc_u64 s[60:61], s[62:63], -4
	s_lshl_b64 s[62:63], s[46:47], 3
	s_add_nc_u64 s[50:51], s[48:49], 4
	s_lshl_b64 s[52:53], s[30:31], 2
	s_add_nc_u64 s[56:57], s[44:45], -4
	s_add_nc_u64 s[58:59], s[40:41], -4
	s_lshl_b64 s[64:65], s[30:31], 3
	s_sub_nc_u64 s[66:67], 0, s[62:63]
	s_add_nc_u64 s[68:69], s[48:49], -4
	s_mov_b32 s5, 0
                                        ; implicit-def: $vgpr50
                                        ; implicit-def: $vgpr16_vgpr17
                                        ; implicit-def: $vgpr18_vgpr19
                                        ; implicit-def: $vgpr20_vgpr21
                                        ; implicit-def: $vgpr8_vgpr9
                                        ; implicit-def: $vgpr49
                                        ; implicit-def: $vgpr14_vgpr15
                                        ; implicit-def: $vgpr1
                                        ; implicit-def: $vgpr10_vgpr11
                                        ; implicit-def: $vgpr12_vgpr13
	s_branch .LBB17_7
.LBB17_4:                               ;   in Loop: Header=BB17_7 Depth=1
	s_or_b32 exec_lo, exec_lo, s1
.LBB17_5:                               ;   in Loop: Header=BB17_7 Depth=1
	s_wait_storecnt 0x0
	s_barrier_signal -1
	s_barrier_wait -1
.LBB17_6:                               ;   in Loop: Header=BB17_7 Depth=1
	ds_load_2addr_b32 v[22:23], v48 offset0:3 offset1:7
	s_wait_dscnt 0x0
	v_cmp_gt_i32_e32 vcc_lo, s6, v22
	v_cmp_gt_i32_e64 s1, s24, v23
	v_readfirstlane_b32 s70, v22
	s_and_b32 s1, vcc_lo, s1
	s_delay_alu instid0(SALU_CYCLE_1)
	s_and_not1_b32 vcc_lo, exec_lo, s1
	s_cbranch_vccnz .LBB17_229
.LBB17_7:                               ; =>This Loop Header: Depth=1
                                        ;     Child Loop BB17_15 Depth 2
                                        ;     Child Loop BB17_29 Depth 2
	;; [unrolled: 1-line block ×6, first 2 shown]
                                        ;       Child Loop BB17_159 Depth 3
                                        ;       Child Loop BB17_179 Depth 3
	;; [unrolled: 1-line block ×3, first 2 shown]
                                        ;         Child Loop BB17_227 Depth 4
                                        ;     Child Loop BB17_74 Depth 2
                                        ;       Child Loop BB17_81 Depth 3
                                        ;       Child Loop BB17_101 Depth 3
	;; [unrolled: 1-line block ×3, first 2 shown]
                                        ;         Child Loop BB17_149 Depth 4
                                        ;     Child Loop BB17_64 Depth 2
                                        ;     Child Loop BB17_71 Depth 2
	s_and_saveexec_b32 s3, s2
	s_cbranch_execz .LBB17_37
; %bb.8:                                ;   in Loop: Header=BB17_7 Depth=1
	s_cmp_lt_i32 s70, 1
	s_cbranch_scc1 .LBB17_10
; %bb.9:                                ;   in Loop: Header=BB17_7 Depth=1
	v_mov_b32_e32 v6, s70
	global_store_b32 v6, v48, s[40:41] offset:-4 scale_offset
.LBB17_10:                              ;   in Loop: Header=BB17_7 Depth=1
	s_mov_b32 s31, -1
	s_mov_b32 s4, 0
	s_cmp_lt_i32 s70, s34
	s_mov_b32 s1, 0
	s_cbranch_scc1 .LBB17_12
; %bb.11:                               ;   in Loop: Header=BB17_7 Depth=1
	s_ashr_i32 s71, s70, 31
	s_mov_b32 s31, 0
	s_mov_b32 s1, -1
.LBB17_12:                              ;   in Loop: Header=BB17_7 Depth=1
	s_and_not1_b32 vcc_lo, exec_lo, s31
	s_cbranch_vccnz .LBB17_17
; %bb.13:                               ;   in Loop: Header=BB17_7 Depth=1
	s_ashr_i32 s71, s70, 31
	s_delay_alu instid0(SALU_CYCLE_1)
	s_lshl_b64 s[72:73], s[70:71], 2
	s_mov_b64 s[76:77], s[70:71]
	s_add_nc_u64 s[80:81], s[40:41], s[72:73]
	s_add_nc_u64 s[74:75], s[50:51], s[72:73]
	s_branch .LBB17_15
.LBB17_14:                              ;   in Loop: Header=BB17_15 Depth=2
	s_and_not1_b32 vcc_lo, exec_lo, s31
	s_cbranch_vccz .LBB17_18
.LBB17_15:                              ;   Parent Loop BB17_7 Depth=1
                                        ; =>  This Inner Loop Header: Depth=2
	s_clause 0x1
	global_load_b64 v[16:17], v48, s[74:75] offset:-4
	global_load_b32 v6, v48, s[80:81]
	s_mov_b64 s[72:73], s[80:81]
	s_wait_loadcnt 0x1
	v_readfirstlane_b32 s4, v17
	s_wait_loadcnt 0x0
	v_and_b32_e32 v6, 0x7fffffff, v6
	s_bitset0_b32 s4, 31
	s_delay_alu instid0(SALU_CYCLE_1) | instskip(SKIP_1) | instid1(SALU_CYCLE_2)
	s_mul_f32 s31, s4, 0x4f800000
	s_cmp_lt_f32 s4, 0xf800000
	s_cselect_b32 s31, s31, s4
	s_delay_alu instid0(SALU_CYCLE_1) | instskip(SKIP_1) | instid1(TRANS32_DEP_1)
	v_s_sqrt_f32 s33, s31
	s_mov_b32 s78, s31
	s_add_co_i32 s35, s33, -1
	s_delay_alu instid0(SALU_CYCLE_1) | instskip(NEXT) | instid1(SALU_CYCLE_1)
	s_xor_b32 s79, s35, 0x80000000
	s_fmac_f32 s78, s79, s33
	s_mov_b32 s79, s31
	s_delay_alu instid0(SALU_CYCLE_2) | instskip(SKIP_4) | instid1(SALU_CYCLE_1)
	s_cmp_le_f32 s78, 0
	s_cselect_b32 s35, s35, s33
	s_add_co_i32 s78, s33, 1
	s_wait_xcnt 0x0
	s_xor_b32 s80, s78, 0x80000000
	s_fmac_f32 s79, s80, s33
	v_readfirstlane_b32 s33, v16
	s_delay_alu instid0(SALU_CYCLE_2) | instskip(SKIP_3) | instid1(SALU_CYCLE_3)
	s_cmp_gt_f32 s79, 0
	s_cselect_b32 s35, s78, s35
	s_cmp_lt_f32 s4, 0xf800000
	s_mul_f32 s4, s35, 0x37800000
	s_cselect_b32 s4, s4, s35
	s_bitset0_b32 s33, 31
	s_delay_alu instid0(SALU_CYCLE_1) | instskip(SKIP_1) | instid1(SALU_CYCLE_2)
	s_mul_f32 s35, s33, 0x4f800000
	s_cmp_lt_f32 s33, 0xf800000
	s_cselect_b32 s35, s35, s33
	s_delay_alu instid0(SALU_CYCLE_1) | instskip(SKIP_1) | instid1(TRANS32_DEP_1)
	v_s_sqrt_f32 s78, s35
	s_mov_b32 s80, s35
	s_add_co_i32 s79, s78, -1
	s_delay_alu instid0(SALU_CYCLE_1) | instskip(NEXT) | instid1(SALU_CYCLE_1)
	s_xor_b32 s81, s79, 0x80000000
	s_fmac_f32 s80, s81, s78
	s_mov_b32 s81, s35
	s_delay_alu instid0(SALU_CYCLE_2) | instskip(SKIP_2) | instid1(SALU_CYCLE_1)
	s_cmp_le_f32 s80, 0
	s_cselect_b32 s79, s79, s78
	s_add_co_i32 s80, s78, 1
	s_xor_b32 s82, s80, 0x80000000
	s_delay_alu instid0(SALU_CYCLE_1) | instskip(SKIP_1) | instid1(SALU_CYCLE_2)
	s_fmac_f32 s81, s82, s78
	v_cmp_class_f32_e64 s78, s35, 0x260
	s_cmp_gt_f32 s81, 0
	s_cselect_b32 s79, s80, s79
	s_cmp_lt_f32 s33, 0xf800000
	s_mul_f32 s33, s79, 0x37800000
	v_cmp_class_f32_e64 s80, s31, 0x260
	s_delay_alu instid0(SALU_CYCLE_2)
	s_cselect_b32 s33, s33, s79
	s_and_b32 s78, s78, exec_lo
	s_cselect_b32 s33, s35, s33
	s_and_b32 s35, s80, exec_lo
	s_cselect_b32 s4, s31, s4
	s_mov_b64 s[78:79], s[76:77]
	s_mul_f32 s4, s33, s4
	s_mov_b32 s31, -1
                                        ; implicit-def: $sgpr76_sgpr77
                                        ; implicit-def: $sgpr80_sgpr81
	s_delay_alu instid0(SALU_CYCLE_2) | instskip(NEXT) | instid1(SALU_CYCLE_3)
	s_mul_f32 s4, s25, s4
	v_cmp_nge_f32_e32 vcc_lo, s4, v6
	s_mov_b32 s4, -1
	s_cbranch_vccz .LBB17_14
; %bb.16:                               ;   in Loop: Header=BB17_15 Depth=2
	s_add_nc_u64 s[76:77], s[78:79], 1
	s_add_nc_u64 s[80:81], s[72:73], 4
	s_cmp_ge_i32 s76, s34
	s_add_nc_u64 s[74:75], s[74:75], 4
	s_mov_b32 s4, 0
	s_cselect_b32 s31, -1, 0
	s_branch .LBB17_14
.LBB17_17:                              ;   in Loop: Header=BB17_7 Depth=1
	s_mov_b32 s31, s70
	s_mov_b64 s[74:75], s[70:71]
	s_and_b32 vcc_lo, exec_lo, s1
	s_cbranch_vccnz .LBB17_21
	s_branch .LBB17_22
.LBB17_18:                              ;   in Loop: Header=BB17_7 Depth=1
	s_xor_b32 s4, s4, -1
                                        ; implicit-def: $sgpr74_sgpr75
	s_delay_alu instid0(SALU_CYCLE_1)
	s_and_b32 vcc_lo, exec_lo, s4
	s_mov_b32 s4, -1
	s_cbranch_vccz .LBB17_20
; %bb.19:                               ;   in Loop: Header=BB17_7 Depth=1
	s_ashr_i32 s35, s34, 31
	s_mov_b32 s1, -1
	s_mov_b32 s4, 0
	s_mov_b64 s[74:75], s[34:35]
.LBB17_20:                              ;   in Loop: Header=BB17_7 Depth=1
	v_mov_b64_e32 v[16:17], s[78:79]
	v_mov_b64_e32 v[18:19], s[72:73]
	;; [unrolled: 1-line block ×3, first 2 shown]
	v_mov_b32_e32 v50, s78
	s_mov_b32 s31, s34
	s_and_b32 vcc_lo, exec_lo, s1
	s_cbranch_vccz .LBB17_22
.LBB17_21:                              ;   in Loop: Header=BB17_7 Depth=1
	s_wait_xcnt 0x0
	v_mov_b32_e32 v6, s31
	ds_store_b32 v48, v6 offset:4
.LBB17_22:                              ;   in Loop: Header=BB17_7 Depth=1
	v_mov_b64_e32 v[22:23], s[70:71]
	v_mov_b64_e32 v[24:25], s[74:75]
	s_wait_xcnt 0x0
	v_mov_b32_e32 v6, s31
	s_and_not1_b32 vcc_lo, exec_lo, s4
	s_cbranch_vccnz .LBB17_24
; %bb.23:                               ;   in Loop: Header=BB17_7 Depth=1
	v_mov_b64_e32 v[22:23], v[20:21]
	v_mov_b64_e32 v[24:25], v[16:17]
	v_mov_b32_e32 v6, v50
	ds_store_b32 v48, v50 offset:4
	global_store_b32 v[18:19], v48, off
.LBB17_24:                              ;   in Loop: Header=BB17_7 Depth=1
	s_delay_alu instid0(VALU_DEP_2)
	v_lshl_add_u64 v[24:25], v[24:25], 2, s[18:19]
	v_lshl_add_u64 v[26:27], v[22:23], 2, s[18:19]
	s_mov_b32 s1, exec_lo
	s_clause 0x1
	global_load_b32 v22, v[24:25], off
	global_load_b32 v23, v[26:27], off
	s_wait_xcnt 0x1
	v_dual_mov_b32 v24, s70 :: v_dual_add_nc_u32 v25, 1, v6
	s_wait_xcnt 0x0
	v_mov_b32_e32 v26, s70
	ds_store_2addr_b32 v48, v24, v6 offset1:5
	ds_store_b32 v48, v6 offset:32
	ds_store_2addr_b32 v48, v25, v26 offset0:3 offset1:4
	s_wait_loadcnt 0x0
	v_cmpx_lt_f32_e64 |v22|, |v23|
; %bb.25:                               ;   in Loop: Header=BB17_7 Depth=1
	v_mov_b32_e32 v23, s70
	ds_store_2addr_b32 v48, v6, v23 offset1:5
; %bb.26:                               ;   in Loop: Header=BB17_7 Depth=1
	s_or_b32 exec_lo, exec_lo, s1
	v_and_b32_e32 v28, 0x7fffffff, v22
	s_mov_b32 s4, exec_lo
	v_cmpx_lt_i32_e64 s70, v6
	s_cbranch_execz .LBB17_36
; %bb.27:                               ;   in Loop: Header=BB17_7 Depth=1
	v_subrev_nc_u32_e32 v23, s70, v6
	v_mov_b32_e32 v22, s70
	s_mov_b32 s33, -1
	s_mov_b32 s31, exec_lo
	s_delay_alu instid0(VALU_DEP_2)
	v_cmpx_lt_u32_e32 1, v23
	s_cbranch_execz .LBB17_31
; %bb.28:                               ;   in Loop: Header=BB17_7 Depth=1
	v_dual_mov_b32 v27, v28 :: v_dual_bitop2_b32 v22, -2, v23 bitop3:0x40
	s_mov_b32 s35, 0
	s_mov_b32 s1, 0
                                        ; implicit-def: $sgpr33
	s_delay_alu instid0(VALU_DEP_1)
	v_add_nc_u32_e32 v24, -2, v22
.LBB17_29:                              ;   Parent Loop BB17_7 Depth=1
                                        ; =>  This Inner Loop Header: Depth=2
	s_add_co_i32 s72, s70, s1
	v_dual_mov_b32 v26, v27 :: v_dual_mov_b32 v25, v28
	s_ashr_i32 s73, s72, 31
	s_add_co_i32 s71, s1, 2
	s_lshl_b64 s[72:73], s[72:73], 2
	v_cmp_eq_u32_e32 vcc_lo, s1, v24
	s_add_nc_u64 s[74:75], s[40:41], s[72:73]
	s_add_nc_u64 s[72:73], s[18:19], s[72:73]
	s_clause 0x1
	global_load_b64 v[30:31], v48, s[74:75]
	global_load_b64 v[32:33], v48, s[72:73]
	v_dual_mov_b32 v29, s1 :: v_dual_max_num_f32 v27, v26, v26
	s_wait_loadcnt 0x1
	v_max_num_f32_e64 v31, |v31|, |v31|
	s_wait_loadcnt 0x0
	v_max_num_f32_e64 v33, |v33|, |v33|
	v_max_num_f32_e64 v30, |v30|, |v30|
	;; [unrolled: 1-line block ×3, first 2 shown]
	s_delay_alu instid0(VALU_DEP_1) | instskip(NEXT) | instid1(VALU_DEP_1)
	v_dual_max_num_f32 v28, v25, v25 :: v_dual_max_num_f32 v30, v32, v30
	v_dual_max_num_f32 v31, v33, v31 :: v_dual_max_num_f32 v28, v28, v30
	s_delay_alu instid0(VALU_DEP_1) | instskip(SKIP_1) | instid1(VALU_DEP_2)
	v_cmp_u_f32_e64 s1, v31, v31
	v_max_num_f32_e32 v27, v27, v31
	v_cndmask_b32_e64 v32, 0, 1, s1
	v_cmp_u_f32_e64 s1, v30, v30
	s_delay_alu instid0(VALU_DEP_1) | instskip(NEXT) | instid1(VALU_DEP_3)
	v_cndmask_b32_e64 v33, 0, 1, s1
	v_readfirstlane_b32 s1, v32
	s_wait_xcnt 0x0
	s_delay_alu instid0(VALU_DEP_2) | instskip(SKIP_1) | instid1(SALU_CYCLE_1)
	v_readfirstlane_b32 s72, v33
	s_lshl_b32 s1, s1, 1
	s_or_b32 s1, s72, s1
	s_delay_alu instid0(SALU_CYCLE_1) | instskip(NEXT) | instid1(SALU_CYCLE_1)
	s_and_b32 s1, s1, 3
	s_cmp_lg_u32 s1, 0
	s_cselect_b32 s1, -1, 0
	s_delay_alu instid0(SALU_CYCLE_1) | instskip(NEXT) | instid1(SALU_CYCLE_1)
	s_or_b32 s72, s1, vcc_lo
	s_and_b32 s72, exec_lo, s72
	s_delay_alu instid0(SALU_CYCLE_1)
	s_or_b32 s35, s72, s35
	s_and_not1_b32 s33, s33, exec_lo
	s_and_b32 s72, s1, exec_lo
	s_mov_b32 s1, s71
	s_or_b32 s33, s33, s72
	s_and_not1_b32 exec_lo, exec_lo, s35
	s_cbranch_execnz .LBB17_29
; %bb.30:                               ;   in Loop: Header=BB17_7 Depth=1
	s_or_b32 exec_lo, exec_lo, s35
	v_dual_cndmask_b32 v24, v27, v26, s33 :: v_dual_cndmask_b32 v25, v28, v25, s33
	v_cmp_ne_u32_e32 vcc_lo, v23, v22
	s_delay_alu instid0(VALU_DEP_2) | instskip(SKIP_2) | instid1(SALU_CYCLE_1)
	v_dual_max_num_f32 v24, v24, v24 :: v_dual_max_num_f32 v25, v25, v25
	v_cndmask_b32_e64 v26, v22, v29, s33
	s_or_b32 s1, vcc_lo, s33
	s_or_not1_b32 s33, s1, exec_lo
	s_delay_alu instid0(VALU_DEP_1)
	v_dual_max_num_f32 v28, v25, v24 :: v_dual_add_nc_u32 v22, s70, v26
.LBB17_31:                              ;   in Loop: Header=BB17_7 Depth=1
	s_or_b32 exec_lo, exec_lo, s31
	s_and_saveexec_b32 s1, s33
	s_cbranch_execz .LBB17_35
; %bb.32:                               ;   in Loop: Header=BB17_7 Depth=1
	s_delay_alu instid0(VALU_DEP_1) | instskip(SKIP_1) | instid1(VALU_DEP_1)
	v_ashrrev_i32_e32 v23, 31, v22
	s_mov_b32 s31, 0
	v_lshlrev_b64_e32 v[26:27], 2, v[22:23]
	s_delay_alu instid0(VALU_DEP_1)
	v_add_nc_u64_e32 v[24:25], s[48:49], v[26:27]
	v_add_nc_u64_e32 v[26:27], s[40:41], v[26:27]
.LBB17_33:                              ;   Parent Loop BB17_7 Depth=1
                                        ; =>  This Inner Loop Header: Depth=2
	global_load_b32 v23, v[24:25], off
	global_load_b32 v29, v[26:27], off
	v_add_nc_u32_e32 v22, 1, v22
	s_wait_xcnt 0x1
	v_add_nc_u64_e32 v[24:25], 4, v[24:25]
	s_wait_xcnt 0x0
	v_add_nc_u64_e32 v[26:27], 4, v[26:27]
	v_cmp_ge_i32_e32 vcc_lo, v22, v6
	s_or_b32 s31, vcc_lo, s31
	s_wait_loadcnt 0x0
	v_max3_num_f32 v28, v28, |v23|, |v29|
	s_and_not1_b32 exec_lo, exec_lo, s31
	s_cbranch_execnz .LBB17_33
; %bb.34:                               ;   in Loop: Header=BB17_7 Depth=1
	s_or_b32 exec_lo, exec_lo, s31
.LBB17_35:                              ;   in Loop: Header=BB17_7 Depth=1
	s_delay_alu instid0(SALU_CYCLE_1)
	s_or_b32 exec_lo, exec_lo, s1
.LBB17_36:                              ;   in Loop: Header=BB17_7 Depth=1
	s_delay_alu instid0(SALU_CYCLE_1)
	s_or_b32 exec_lo, exec_lo, s4
	ds_store_b32 v48, v28 offset:24
.LBB17_37:                              ;   in Loop: Header=BB17_7 Depth=1
	s_or_b32 exec_lo, exec_lo, s3
	s_wait_storecnt_dscnt 0x0
	s_barrier_signal -1
	s_barrier_wait -1
	ds_load_2addr_b32 v[22:23], v48 offset0:5 offset1:6
	ds_load_b32 v6, v48
	s_wait_dscnt 0x1
	v_readfirstlane_b32 s1, v23
	v_readfirstlane_b32 s3, v22
	s_cmp_eq_f32 s1, 0
	s_wait_dscnt 0x0
	v_cmp_eq_u32_e32 vcc_lo, s3, v6
	s_cselect_b32 s3, -1, 0
	s_delay_alu instid0(SALU_CYCLE_1) | instskip(NEXT) | instid1(SALU_CYCLE_1)
	s_or_b32 s3, vcc_lo, s3
	s_and_b32 vcc_lo, exec_lo, s3
	s_cbranch_vccnz .LBB17_6
; %bb.38:                               ;   in Loop: Header=BB17_7 Depth=1
	s_cmp_ngt_f32 s1, s27
	s_mov_b32 s3, -1
	s_cbranch_scc0 .LBB17_47
; %bb.39:                               ;   in Loop: Header=BB17_7 Depth=1
	s_cmp_nlt_f32 s1, s26
	s_cbranch_scc1 .LBB17_46
; %bb.40:                               ;   in Loop: Header=BB17_7 Depth=1
	v_div_scale_f32 v6, null, s26, s26, s1
	v_div_scale_f32 v25, vcc_lo, s1, s26, s1
	s_delay_alu instid0(VALU_DEP_2)
	v_rcp_f32_e32 v24, v6
	v_nop
	v_xor_b32_e32 v6, 0x80000000, v6
	s_delay_alu instid0(TRANS32_DEP_1) | instid1(VALU_DEP_1)
	v_fma_f32 v22, v6, v24, 1.0
	s_delay_alu instid0(VALU_DEP_1) | instskip(SKIP_2) | instid1(VALU_DEP_1)
	v_fmac_f32_e32 v24, v22, v24
	ds_load_2addr_b32 v[22:23], v48 offset0:4 offset1:8
	v_mul_f32_e32 v26, v25, v24
	v_fma_f32 v27, v6, v26, v25
	s_delay_alu instid0(VALU_DEP_1) | instskip(NEXT) | instid1(VALU_DEP_1)
	v_fmac_f32_e32 v26, v27, v24
	v_fmac_f32_e32 v25, v6, v26
	s_delay_alu instid0(VALU_DEP_1) | instskip(NEXT) | instid1(VALU_DEP_1)
	v_div_fmas_f32 v6, v25, v24, v26
	v_div_fixup_f32 v6, v6, s26, s1
	s_and_saveexec_b32 s3, s2
	s_cbranch_execz .LBB17_42
; %bb.41:                               ;   in Loop: Header=BB17_7 Depth=1
	s_wait_dscnt 0x0
	global_load_b32 v24, v23, s[18:19] scale_offset
	s_wait_loadcnt 0x0
	v_mul_f32_e32 v24, v6, v24
	global_store_b32 v23, v24, s[18:19] scale_offset
.LBB17_42:                              ;   in Loop: Header=BB17_7 Depth=1
	s_wait_xcnt 0x0
	s_or_b32 exec_lo, exec_lo, s3
	s_wait_dscnt 0x0
	v_add_nc_u32_e32 v24, v22, v0
	s_mov_b32 s3, exec_lo
	s_delay_alu instid0(VALU_DEP_1)
	v_cmpx_lt_i32_e64 v24, v23
	s_cbranch_execz .LBB17_45
; %bb.43:                               ;   in Loop: Header=BB17_7 Depth=1
	v_ashrrev_i32_e32 v25, 31, v24
	s_mov_b32 s4, 0
	s_delay_alu instid0(VALU_DEP_1)
	v_lshlrev_b64_e32 v[26:27], 2, v[24:25]
.LBB17_44:                              ;   Parent Loop BB17_7 Depth=1
                                        ; =>  This Inner Loop Header: Depth=2
	s_delay_alu instid0(VALU_DEP_1)
	v_add_nc_u64_e32 v[28:29], s[18:19], v[26:27]
	v_add_nc_u64_e32 v[30:31], s[40:41], v[26:27]
	;; [unrolled: 1-line block ×3, first 2 shown]
	v_add_nc_u32_e32 v24, s30, v24
	global_load_b32 v22, v[28:29], off
	v_cmp_ge_i32_e32 vcc_lo, v24, v23
	s_or_b32 s4, vcc_lo, s4
	s_wait_loadcnt 0x0
	v_mul_f32_e32 v22, v6, v22
	global_store_b32 v[28:29], v22, off
	global_load_b32 v22, v[30:31], off
	s_wait_loadcnt 0x0
	v_mul_f32_e32 v22, v6, v22
	global_store_b32 v[30:31], v22, off
	s_wait_xcnt 0x0
	s_and_not1_b32 exec_lo, exec_lo, s4
	s_cbranch_execnz .LBB17_44
.LBB17_45:                              ;   in Loop: Header=BB17_7 Depth=1
	s_or_b32 exec_lo, exec_lo, s3
.LBB17_46:                              ;   in Loop: Header=BB17_7 Depth=1
	s_mov_b32 s3, 0
.LBB17_47:                              ;   in Loop: Header=BB17_7 Depth=1
	s_delay_alu instid0(SALU_CYCLE_1)
	s_and_not1_b32 vcc_lo, exec_lo, s3
	s_cbranch_vccnz .LBB17_54
; %bb.48:                               ;   in Loop: Header=BB17_7 Depth=1
	v_div_scale_f32 v6, null, s27, s27, s1
	v_div_scale_f32 v25, vcc_lo, s1, s27, s1
	s_delay_alu instid0(VALU_DEP_2)
	v_rcp_f32_e32 v24, v6
	v_nop
	v_xor_b32_e32 v6, 0x80000000, v6
	s_delay_alu instid0(TRANS32_DEP_1) | instid1(VALU_DEP_1)
	v_fma_f32 v22, v6, v24, 1.0
	s_delay_alu instid0(VALU_DEP_1) | instskip(SKIP_2) | instid1(VALU_DEP_1)
	v_fmac_f32_e32 v24, v22, v24
	ds_load_2addr_b32 v[22:23], v48 offset0:4 offset1:8
	v_mul_f32_e32 v26, v25, v24
	v_fma_f32 v27, v6, v26, v25
	s_delay_alu instid0(VALU_DEP_1) | instskip(NEXT) | instid1(VALU_DEP_1)
	v_fmac_f32_e32 v26, v27, v24
	v_fmac_f32_e32 v25, v6, v26
	s_delay_alu instid0(VALU_DEP_1) | instskip(NEXT) | instid1(VALU_DEP_1)
	v_div_fmas_f32 v6, v25, v24, v26
	v_div_fixup_f32 v6, v6, s27, s1
	s_and_saveexec_b32 s1, s2
	s_cbranch_execz .LBB17_50
; %bb.49:                               ;   in Loop: Header=BB17_7 Depth=1
	s_wait_dscnt 0x0
	global_load_b32 v24, v23, s[18:19] scale_offset
	s_wait_loadcnt 0x0
	v_mul_f32_e32 v24, v6, v24
	global_store_b32 v23, v24, s[18:19] scale_offset
.LBB17_50:                              ;   in Loop: Header=BB17_7 Depth=1
	s_wait_xcnt 0x0
	s_or_b32 exec_lo, exec_lo, s1
	s_wait_dscnt 0x0
	v_add_nc_u32_e32 v24, v22, v0
	s_mov_b32 s1, exec_lo
	s_delay_alu instid0(VALU_DEP_1)
	v_cmpx_lt_i32_e64 v24, v23
	s_cbranch_execz .LBB17_53
; %bb.51:                               ;   in Loop: Header=BB17_7 Depth=1
	v_ashrrev_i32_e32 v25, 31, v24
	s_mov_b32 s3, 0
	s_delay_alu instid0(VALU_DEP_1)
	v_lshlrev_b64_e32 v[26:27], 2, v[24:25]
.LBB17_52:                              ;   Parent Loop BB17_7 Depth=1
                                        ; =>  This Inner Loop Header: Depth=2
	s_delay_alu instid0(VALU_DEP_1)
	v_add_nc_u64_e32 v[28:29], s[18:19], v[26:27]
	v_add_nc_u64_e32 v[30:31], s[40:41], v[26:27]
	v_add_nc_u64_e32 v[26:27], s[52:53], v[26:27]
	v_add_nc_u32_e32 v24, s30, v24
	global_load_b32 v22, v[28:29], off
	v_cmp_ge_i32_e32 vcc_lo, v24, v23
	s_or_b32 s3, vcc_lo, s3
	s_wait_loadcnt 0x0
	v_mul_f32_e32 v22, v6, v22
	global_store_b32 v[28:29], v22, off
	global_load_b32 v22, v[30:31], off
	s_wait_loadcnt 0x0
	v_mul_f32_e32 v22, v6, v22
	global_store_b32 v[30:31], v22, off
	s_wait_xcnt 0x0
	s_and_not1_b32 exec_lo, exec_lo, s3
	s_cbranch_execnz .LBB17_52
.LBB17_53:                              ;   in Loop: Header=BB17_7 Depth=1
	s_or_b32 exec_lo, exec_lo, s1
.LBB17_54:                              ;   in Loop: Header=BB17_7 Depth=1
	s_wait_storecnt 0x0
	s_barrier_signal -1
	s_barrier_wait -1
	ds_load_b32 v25, v48 offset:28
	ds_load_2addr_b32 v[22:23], v48 offset1:5
	s_mov_b32 s4, -1
                                        ; implicit-def: $vgpr28_vgpr29
                                        ; implicit-def: $vgpr26_vgpr27
	s_wait_dscnt 0x1
	v_cmp_gt_i32_e64 s1, s24, v25
	s_wait_dscnt 0x0
	v_cmp_lt_i32_e32 vcc_lo, v23, v22
	v_mov_b32_e32 v24, v23
                                        ; implicit-def: $vgpr23
	s_delay_alu instid0(VALU_DEP_3) | instskip(NEXT) | instid1(VALU_DEP_1)
	v_cndmask_b32_e64 v6, 0, 1, s1
	v_cmp_ne_u32_e64 s3, 1, v6
	s_cbranch_vccnz .LBB17_57
; %bb.55:                               ;   in Loop: Header=BB17_7 Depth=1
	v_mov_b64_e32 v[28:29], v[12:13]
	v_mov_b64_e32 v[26:27], v[10:11]
	v_dual_mov_b32 v23, v1 :: v_dual_mov_b32 v39, v25
	v_dual_mov_b32 v38, v24 :: v_dual_mov_b32 v30, v22
	s_and_b32 vcc_lo, exec_lo, s3
	s_cbranch_vccz .LBB17_153
.LBB17_56:                              ;   in Loop: Header=BB17_7 Depth=1
	s_mov_b32 s4, 0
.LBB17_57:                              ;   in Loop: Header=BB17_7 Depth=1
	s_delay_alu instid0(SALU_CYCLE_1)
	s_and_not1_b32 vcc_lo, exec_lo, s4
	s_cbranch_vccz .LBB17_74
; %bb.58:                               ;   in Loop: Header=BB17_7 Depth=1
	v_mov_b64_e32 v[10:11], v[26:27]
	v_mov_b64_e32 v[12:13], v[28:29]
	v_mov_b32_e32 v1, v23
.LBB17_59:                              ;   in Loop: Header=BB17_7 Depth=1
	s_barrier_signal -1
	s_barrier_wait -1
	ds_load_b32 v6, v48 offset:24
	s_wait_dscnt 0x0
	v_cmp_nlt_f32_e32 vcc_lo, s27, v6
	s_cbranch_vccnz .LBB17_66
; %bb.60:                               ;   in Loop: Header=BB17_7 Depth=1
	v_div_scale_f32 v22, null, v6, v6, s27
	v_div_scale_f32 v26, vcc_lo, s27, v6, s27
	s_delay_alu instid0(VALU_DEP_2)
	v_rcp_f32_e32 v24, v22
	v_xor_b32_e32 v25, 0x80000000, v22
	s_delay_alu instid0(TRANS32_DEP_1) | instid1(VALU_DEP_1)
	v_fma_f32 v22, v25, v24, 1.0
	s_delay_alu instid0(VALU_DEP_1) | instskip(SKIP_2) | instid1(VALU_DEP_1)
	v_fmac_f32_e32 v24, v22, v24
	ds_load_2addr_b32 v[22:23], v48 offset0:4 offset1:8
	v_mul_f32_e32 v27, v26, v24
	v_fma_f32 v28, v25, v27, v26
	s_delay_alu instid0(VALU_DEP_1) | instskip(NEXT) | instid1(VALU_DEP_1)
	v_fmac_f32_e32 v27, v28, v24
	v_fmac_f32_e32 v26, v25, v27
	s_delay_alu instid0(VALU_DEP_1) | instskip(NEXT) | instid1(VALU_DEP_1)
	v_div_fmas_f32 v24, v26, v24, v27
	v_div_fixup_f32 v28, v24, v6, s27
	s_and_saveexec_b32 s1, s2
	s_cbranch_execz .LBB17_62
; %bb.61:                               ;   in Loop: Header=BB17_7 Depth=1
	s_wait_dscnt 0x0
	global_load_b32 v24, v23, s[18:19] scale_offset
	s_wait_loadcnt 0x0
	v_mul_f32_e32 v24, v28, v24
	global_store_b32 v23, v24, s[18:19] scale_offset
.LBB17_62:                              ;   in Loop: Header=BB17_7 Depth=1
	s_wait_xcnt 0x0
	s_or_b32 exec_lo, exec_lo, s1
	s_wait_dscnt 0x0
	v_add_nc_u32_e32 v24, v22, v0
	s_mov_b32 s1, exec_lo
	s_delay_alu instid0(VALU_DEP_1)
	v_cmpx_lt_i32_e64 v24, v23
	s_cbranch_execz .LBB17_65
; %bb.63:                               ;   in Loop: Header=BB17_7 Depth=1
	v_ashrrev_i32_e32 v25, 31, v24
	s_mov_b32 s3, 0
	s_delay_alu instid0(VALU_DEP_1)
	v_lshlrev_b64_e32 v[26:27], 2, v[24:25]
.LBB17_64:                              ;   Parent Loop BB17_7 Depth=1
                                        ; =>  This Inner Loop Header: Depth=2
	s_delay_alu instid0(VALU_DEP_1)
	v_add_nc_u64_e32 v[30:31], s[18:19], v[26:27]
	v_add_nc_u64_e32 v[32:33], s[40:41], v[26:27]
	;; [unrolled: 1-line block ×3, first 2 shown]
	v_add_nc_u32_e32 v24, s30, v24
	global_load_b32 v22, v[30:31], off
	v_cmp_ge_i32_e32 vcc_lo, v24, v23
	s_or_b32 s3, vcc_lo, s3
	s_wait_loadcnt 0x0
	v_mul_f32_e32 v22, v28, v22
	global_store_b32 v[30:31], v22, off
	global_load_b32 v22, v[32:33], off
	s_wait_loadcnt 0x0
	v_mul_f32_e32 v22, v28, v22
	global_store_b32 v[32:33], v22, off
	s_wait_xcnt 0x0
	s_and_not1_b32 exec_lo, exec_lo, s3
	s_cbranch_execnz .LBB17_64
.LBB17_65:                              ;   in Loop: Header=BB17_7 Depth=1
	s_or_b32 exec_lo, exec_lo, s1
.LBB17_66:                              ;   in Loop: Header=BB17_7 Depth=1
	v_cmp_ngt_f32_e32 vcc_lo, s26, v6
	s_cbranch_vccnz .LBB17_5
; %bb.67:                               ;   in Loop: Header=BB17_7 Depth=1
	v_div_scale_f32 v22, null, v6, v6, s26
	v_div_scale_f32 v26, vcc_lo, s26, v6, s26
	s_delay_alu instid0(VALU_DEP_2)
	v_rcp_f32_e32 v24, v22
	v_xor_b32_e32 v25, 0x80000000, v22
	s_delay_alu instid0(TRANS32_DEP_1) | instid1(VALU_DEP_1)
	v_fma_f32 v22, v25, v24, 1.0
	s_delay_alu instid0(VALU_DEP_1) | instskip(SKIP_2) | instid1(VALU_DEP_1)
	v_fmac_f32_e32 v24, v22, v24
	ds_load_2addr_b32 v[22:23], v48 offset0:4 offset1:8
	v_mul_f32_e32 v27, v26, v24
	v_fma_f32 v28, v25, v27, v26
	s_delay_alu instid0(VALU_DEP_1) | instskip(NEXT) | instid1(VALU_DEP_1)
	v_fmac_f32_e32 v27, v28, v24
	v_fmac_f32_e32 v26, v25, v27
	s_delay_alu instid0(VALU_DEP_1) | instskip(NEXT) | instid1(VALU_DEP_1)
	v_div_fmas_f32 v24, v26, v24, v27
	v_div_fixup_f32 v6, v24, v6, s26
	s_and_saveexec_b32 s1, s2
	s_cbranch_execz .LBB17_69
; %bb.68:                               ;   in Loop: Header=BB17_7 Depth=1
	s_wait_dscnt 0x0
	global_load_b32 v24, v23, s[18:19] scale_offset
	s_wait_loadcnt 0x0
	v_mul_f32_e32 v24, v6, v24
	global_store_b32 v23, v24, s[18:19] scale_offset
.LBB17_69:                              ;   in Loop: Header=BB17_7 Depth=1
	s_wait_xcnt 0x0
	s_or_b32 exec_lo, exec_lo, s1
	s_wait_dscnt 0x0
	v_add_nc_u32_e32 v24, v22, v0
	s_mov_b32 s1, exec_lo
	s_delay_alu instid0(VALU_DEP_1)
	v_cmpx_lt_i32_e64 v24, v23
	s_cbranch_execz .LBB17_4
; %bb.70:                               ;   in Loop: Header=BB17_7 Depth=1
	v_ashrrev_i32_e32 v25, 31, v24
	s_mov_b32 s3, 0
	s_delay_alu instid0(VALU_DEP_1)
	v_lshlrev_b64_e32 v[26:27], 2, v[24:25]
.LBB17_71:                              ;   Parent Loop BB17_7 Depth=1
                                        ; =>  This Inner Loop Header: Depth=2
	s_delay_alu instid0(VALU_DEP_1)
	v_add_nc_u64_e32 v[28:29], s[18:19], v[26:27]
	v_add_nc_u64_e32 v[30:31], s[40:41], v[26:27]
	;; [unrolled: 1-line block ×3, first 2 shown]
	v_add_nc_u32_e32 v24, s30, v24
	global_load_b32 v22, v[28:29], off
	v_cmp_ge_i32_e32 vcc_lo, v24, v23
	s_or_b32 s3, vcc_lo, s3
	s_wait_loadcnt 0x0
	v_mul_f32_e32 v22, v6, v22
	global_store_b32 v[28:29], v22, off
	global_load_b32 v22, v[30:31], off
	s_wait_loadcnt 0x0
	v_mul_f32_e32 v22, v6, v22
	global_store_b32 v[30:31], v22, off
	s_wait_xcnt 0x0
	s_and_not1_b32 exec_lo, exec_lo, s3
	s_cbranch_execnz .LBB17_71
	s_branch .LBB17_4
.LBB17_72:                              ;   in Loop: Header=BB17_74 Depth=2
	s_or_b32 exec_lo, exec_lo, s1
	s_wait_storecnt 0x0
	s_barrier_signal -1
	s_barrier_wait -1
	ds_load_b32 v22, v48
.LBB17_73:                              ;   in Loop: Header=BB17_74 Depth=2
	ds_load_2addr_b32 v[24:25], v48 offset0:5 offset1:7
	s_wait_dscnt 0x0
	v_cmp_ge_i32_e32 vcc_lo, v22, v24
	v_cmp_gt_i32_e64 s1, s24, v25
	s_and_b32 s1, vcc_lo, s1
.LBB17_74:                              ;   Parent Loop BB17_7 Depth=1
                                        ; =>  This Loop Header: Depth=2
                                        ;       Child Loop BB17_81 Depth 3
                                        ;       Child Loop BB17_101 Depth 3
                                        ;       Child Loop BB17_148 Depth 3
                                        ;         Child Loop BB17_149 Depth 4
	s_delay_alu instid0(SALU_CYCLE_1)
	s_and_not1_b32 vcc_lo, exec_lo, s1
	s_cbranch_vccnz .LBB17_59
; %bb.75:                               ;   in Loop: Header=BB17_74 Depth=2
	s_and_saveexec_b32 s4, s2
	s_cbranch_execz .LBB17_144
; %bb.76:                               ;   in Loop: Header=BB17_74 Depth=2
	v_cmp_gt_i32_e32 vcc_lo, v22, v24
	s_mov_b32 s1, 0
	s_cbranch_vccnz .LBB17_78
; %bb.77:                               ;   in Loop: Header=BB17_74 Depth=2
	v_ashrrev_i32_e32 v23, 31, v22
	s_mov_b32 s3, -1
	s_delay_alu instid0(VALU_DEP_1)
	v_mov_b64_e32 v[30:31], v[22:23]
	v_mov_b32_e32 v26, v22
	s_cbranch_execz .LBB17_79
	s_branch .LBB17_84
.LBB17_78:                              ;   in Loop: Header=BB17_74 Depth=2
	s_mov_b32 s3, 0
                                        ; implicit-def: $vgpr30_vgpr31
	v_mov_b32_e32 v26, v22
.LBB17_79:                              ;   in Loop: Header=BB17_74 Depth=2
	v_dual_mov_b32 v6, v22 :: v_dual_ashrrev_i32 v23, 31, v22
	s_delay_alu instid0(VALU_DEP_1) | instskip(NEXT) | instid1(VALU_DEP_1)
	v_lshlrev_b64_e32 v[14:15], 2, v[22:23]
	v_add_nc_u64_e32 v[8:9], s[40:41], v[14:15]
	v_add_nc_u64_e32 v[14:15], s[68:69], v[14:15]
	s_branch .LBB17_81
.LBB17_80:                              ;   in Loop: Header=BB17_81 Depth=3
	v_add_nc_u32_e32 v6, -1, v49
	v_add_nc_u64_e32 v[14:15], -4, v[14:15]
	s_mov_b32 s1, 0
	s_delay_alu instid0(VALU_DEP_2)
	v_cmp_le_i32_e64 s3, v6, v24
	v_add_nc_u64_e32 v[8:9], -4, v[8:9]
	s_and_not1_b32 vcc_lo, exec_lo, s3
	s_cbranch_vccz .LBB17_83
.LBB17_81:                              ;   Parent Loop BB17_7 Depth=1
                                        ;     Parent Loop BB17_74 Depth=2
                                        ; =>    This Inner Loop Header: Depth=3
	global_load_b64 v[26:27], v[14:15], off
	global_load_b32 v28, v[8:9], off offset:-4
	s_wait_loadcnt 0x1
	v_dual_mov_b32 v49, v6 :: v_dual_mul_f32 v26, v27, v26
	s_wait_loadcnt 0x0
	v_mul_f32_e32 v27, v28, v28
	s_delay_alu instid0(VALU_DEP_2) | instskip(NEXT) | instid1(VALU_DEP_2)
	v_and_b32_e32 v26, 0x7fffffff, v26
	v_and_b32_e32 v27, 0x7fffffff, v27
	s_delay_alu instid0(VALU_DEP_2) | instskip(NEXT) | instid1(VALU_DEP_1)
	v_mul_f32_e32 v26, s10, v26
	v_cmp_le_f32_e32 vcc_lo, v27, v26
	s_cbranch_vccz .LBB17_80
; %bb.82:                               ;   in Loop: Header=BB17_74 Depth=2
	s_mov_b32 s1, -1
                                        ; implicit-def: $vgpr6
                                        ; implicit-def: $vgpr14_vgpr15
	v_add_nc_u64_e32 v[8:9], -4, v[8:9]
.LBB17_83:                              ;   in Loop: Header=BB17_74 Depth=2
	v_mov_b64_e32 v[14:15], v[22:23]
	v_mov_b64_e32 v[30:31], v[22:23]
	v_mov_b32_e32 v26, v24
	s_xor_b32 s3, s1, -1
	s_mov_b32 s1, -1
.LBB17_84:                              ;   in Loop: Header=BB17_74 Depth=2
	s_and_b32 vcc_lo, exec_lo, s3
	s_cbranch_vccnz .LBB17_113
; %bb.85:                               ;   in Loop: Header=BB17_74 Depth=2
	s_and_not1_b32 vcc_lo, exec_lo, s1
	s_cbranch_vccnz .LBB17_87
.LBB17_86:                              ;   in Loop: Header=BB17_74 Depth=2
	v_mov_b64_e32 v[30:31], v[14:15]
	v_mov_b32_e32 v26, v49
	ds_store_2addr_b32 v48, v49, v22 offset0:1 offset1:4
	global_store_b32 v[8:9], v48, off
.LBB17_87:                              ;   in Loop: Header=BB17_74 Depth=2
	v_lshl_add_u64 v[28:29], v[30:31], 2, s[18:19]
	v_add_nc_u32_e32 v6, -1, v22
	s_mov_b32 s1, exec_lo
	global_load_b32 v24, v[28:29], off
	s_wait_loadcnt 0x0
	ds_store_b32 v48, v24 offset:8
	s_wait_xcnt 0x0
	v_cmpx_ne_u32_e64 v26, v22
	s_xor_b32 s31, exec_lo, s1
	s_cbranch_execz .LBB17_141
; %bb.88:                               ;   in Loop: Header=BB17_74 Depth=2
	s_mov_b32 s1, exec_lo
	v_cmpx_ne_u32_e64 v26, v6
	s_xor_b32 s3, exec_lo, s1
	s_cbranch_execz .LBB17_117
; %bb.89:                               ;   in Loop: Header=BB17_74 Depth=2
	v_lshl_add_u64 v[30:31], v[30:31], 2, s[40:41]
	v_add_nc_u32_e32 v25, 1, v25
	s_mov_b32 s33, exec_lo
	global_load_b32 v6, v[28:29], off offset:-4
	global_load_b32 v27, v[30:31], off offset:-4
	global_load_b32 v23, v26, s[18:19] scale_offset
	ds_store_2addr_b32 v48, v48, v25 offset0:2 offset1:7
	s_wait_loadcnt 0x1
	v_dual_sub_f32 v6, v6, v24 :: v_dual_add_f32 v32, v27, v27
	s_delay_alu instid0(VALU_DEP_1) | instskip(SKIP_1) | instid1(VALU_DEP_2)
	v_div_scale_f32 v33, null, v32, v32, v6
	v_div_scale_f32 v36, vcc_lo, v6, v32, v6
	v_rcp_f32_e32 v34, v33
	v_nop
	s_delay_alu instid0(TRANS32_DEP_1) | instskip(NEXT) | instid1(VALU_DEP_1)
	v_fma_f32 v35, -v33, v34, 1.0
	v_fmac_f32_e32 v34, v35, v34
	s_delay_alu instid0(VALU_DEP_1) | instskip(NEXT) | instid1(VALU_DEP_1)
	v_mul_f32_e32 v35, v36, v34
	v_fma_f32 v37, -v33, v35, v36
	s_delay_alu instid0(VALU_DEP_1) | instskip(NEXT) | instid1(VALU_DEP_1)
	v_fmac_f32_e32 v35, v37, v34
	v_fma_f32 v33, -v33, v35, v36
	s_delay_alu instid0(VALU_DEP_1) | instskip(NEXT) | instid1(VALU_DEP_1)
	v_div_fmas_f32 v33, v33, v34, v35
	v_div_fixup_f32 v6, v33, v32, v6
	s_delay_alu instid0(VALU_DEP_1) | instskip(NEXT) | instid1(VALU_DEP_1)
	v_fma_f32 v32, v6, v6, 1.0
	v_mul_f32_e32 v33, 0x4f800000, v32
	v_cmp_gt_f32_e32 vcc_lo, 0xf800000, v32
	s_delay_alu instid0(VALU_DEP_2) | instskip(NEXT) | instid1(VALU_DEP_1)
	v_cndmask_b32_e32 v32, v32, v33, vcc_lo
	v_sqrt_f32_e32 v33, v32
	v_nop
	s_delay_alu instid0(TRANS32_DEP_1) | instskip(NEXT) | instid1(VALU_DEP_1)
	v_dual_add_nc_u32 v34, -1, v33 :: v_dual_add_nc_u32 v35, 1, v33
	v_fma_f32 v36, -v34, v33, v32
	s_delay_alu instid0(VALU_DEP_1) | instskip(NEXT) | instid1(VALU_DEP_1)
	v_cmp_ge_f32_e64 s1, 0, v36
	v_dual_fma_f32 v37, -v35, v33, v32 :: v_dual_cndmask_b32 v33, v33, v34, s1
	s_delay_alu instid0(VALU_DEP_1) | instskip(NEXT) | instid1(VALU_DEP_1)
	v_cmp_lt_f32_e64 s1, 0, v37
	v_cndmask_b32_e64 v33, v33, v35, s1
	s_delay_alu instid0(VALU_DEP_1) | instskip(NEXT) | instid1(VALU_DEP_1)
	v_mul_f32_e32 v34, 0x37800000, v33
	v_cndmask_b32_e32 v33, v33, v34, vcc_lo
	v_cmp_class_f32_e64 vcc_lo, v32, 0x260
	s_delay_alu instid0(VALU_DEP_2) | instskip(SKIP_1) | instid1(VALU_DEP_2)
	v_cndmask_b32_e32 v32, v33, v32, vcc_lo
	v_cmp_nle_f32_e32 vcc_lo, 0, v6
	v_cndmask_b32_e64 v32, |v32|, -|v32|, vcc_lo
	s_delay_alu instid0(VALU_DEP_1) | instskip(NEXT) | instid1(VALU_DEP_1)
	v_add_f32_e32 v6, v6, v32
	v_div_scale_f32 v32, null, v6, v6, v27
	v_div_scale_f32 v35, vcc_lo, v27, v6, v27
	s_delay_alu instid0(VALU_DEP_2) | instskip(SKIP_1) | instid1(TRANS32_DEP_1)
	v_rcp_f32_e32 v33, v32
	v_nop
	v_fma_f32 v34, -v32, v33, 1.0
	s_delay_alu instid0(VALU_DEP_1) | instskip(NEXT) | instid1(VALU_DEP_1)
	v_fmac_f32_e32 v33, v34, v33
	v_mul_f32_e32 v34, v35, v33
	s_delay_alu instid0(VALU_DEP_1) | instskip(NEXT) | instid1(VALU_DEP_1)
	v_fma_f32 v36, -v32, v34, v35
	v_fmac_f32_e32 v34, v36, v33
	s_delay_alu instid0(VALU_DEP_1) | instskip(NEXT) | instid1(VALU_DEP_1)
	v_fma_f32 v32, -v32, v34, v35
	v_div_fmas_f32 v32, v32, v33, v34
	s_wait_loadcnt 0x0
	v_sub_f32_e32 v33, v23, v24
	s_delay_alu instid0(VALU_DEP_2) | instskip(NEXT) | instid1(VALU_DEP_1)
	v_div_fixup_f32 v27, v32, v6, v27
	v_dual_mov_b32 v6, 0 :: v_dual_add_f32 v33, v33, v27
	s_wait_xcnt 0x0
	v_cmpx_lt_i32_e64 v26, v22
	s_cbranch_execz .LBB17_116
; %bb.90:                               ;   in Loop: Header=BB17_74 Depth=2
	v_ashrrev_i32_e32 v27, 31, v26
	s_mov_b32 s35, exec_lo
	s_delay_alu instid0(VALU_DEP_1)
	v_lshl_add_u64 v[24:25], v[26:27], 2, s[40:41]
	global_load_b32 v32, v[24:25], off
	s_wait_xcnt 0x0
	v_dual_mov_b32 v24, 0 :: v_dual_mov_b32 v25, 1.0
	s_wait_loadcnt 0x0
	v_cmpx_neq_f32_e32 0, v32
	s_cbranch_execz .LBB17_98
; %bb.91:                               ;   in Loop: Header=BB17_74 Depth=2
	v_dual_mov_b32 v25, 0 :: v_dual_mov_b32 v24, 1.0
	s_mov_b32 s70, exec_lo
	v_cmpx_neq_f32_e32 0, v33
	s_cbranch_execz .LBB17_97
; %bb.92:                               ;   in Loop: Header=BB17_74 Depth=2
	s_mov_b32 s71, exec_lo
                                        ; implicit-def: $vgpr25
	v_cmpx_ngt_f32_e64 |v32|, |v33|
	s_xor_b32 s71, exec_lo, s71
	s_cbranch_execz .LBB17_94
; %bb.93:                               ;   in Loop: Header=BB17_74 Depth=2
	v_div_scale_f32 v6, null, v33, v33, -v32
	v_div_scale_f32 v34, vcc_lo, -v32, v33, -v32
	s_delay_alu instid0(VALU_DEP_2) | instskip(SKIP_1) | instid1(TRANS32_DEP_1)
	v_rcp_f32_e32 v24, v6
	v_nop
	v_fma_f32 v25, -v6, v24, 1.0
	s_delay_alu instid0(VALU_DEP_1) | instskip(NEXT) | instid1(VALU_DEP_1)
	v_fmac_f32_e32 v24, v25, v24
	v_mul_f32_e32 v25, v34, v24
	s_delay_alu instid0(VALU_DEP_1) | instskip(NEXT) | instid1(VALU_DEP_1)
	v_fma_f32 v35, -v6, v25, v34
	v_fmac_f32_e32 v25, v35, v24
	s_delay_alu instid0(VALU_DEP_1) | instskip(NEXT) | instid1(VALU_DEP_1)
	v_fma_f32 v6, -v6, v25, v34
	v_div_fmas_f32 v6, v6, v24, v25
	s_delay_alu instid0(VALU_DEP_1) | instskip(NEXT) | instid1(VALU_DEP_1)
	v_div_fixup_f32 v6, v6, v33, -v32
	v_fma_f32 v24, v6, v6, 1.0
	s_delay_alu instid0(VALU_DEP_1) | instskip(SKIP_1) | instid1(VALU_DEP_2)
	v_mul_f32_e32 v25, 0x4f800000, v24
	v_cmp_gt_f32_e32 vcc_lo, 0xf800000, v24
	v_cndmask_b32_e32 v24, v24, v25, vcc_lo
	s_delay_alu instid0(VALU_DEP_1) | instskip(SKIP_1) | instid1(TRANS32_DEP_1)
	v_sqrt_f32_e32 v25, v24
	v_nop
	v_dual_add_nc_u32 v33, -1, v25 :: v_dual_add_nc_u32 v34, 1, v25
	s_delay_alu instid0(VALU_DEP_1) | instskip(NEXT) | instid1(VALU_DEP_1)
	v_dual_fma_f32 v35, -v33, v25, v24 :: v_dual_fma_f32 v36, -v34, v25, v24
	v_cmp_ge_f32_e64 s1, 0, v35
	s_delay_alu instid0(VALU_DEP_1) | instskip(NEXT) | instid1(VALU_DEP_3)
	v_cndmask_b32_e64 v25, v25, v33, s1
	v_cmp_lt_f32_e64 s1, 0, v36
	s_delay_alu instid0(VALU_DEP_1) | instskip(NEXT) | instid1(VALU_DEP_1)
	v_cndmask_b32_e64 v25, v25, v34, s1
	v_mul_f32_e32 v33, 0x37800000, v25
	s_delay_alu instid0(VALU_DEP_1) | instskip(SKIP_1) | instid1(VALU_DEP_2)
	v_cndmask_b32_e32 v25, v25, v33, vcc_lo
	v_cmp_class_f32_e64 vcc_lo, v24, 0x260
	v_cndmask_b32_e32 v24, v25, v24, vcc_lo
	s_delay_alu instid0(VALU_DEP_1) | instskip(NEXT) | instid1(VALU_DEP_1)
	v_div_scale_f32 v25, null, v24, v24, 1.0
	v_rcp_f32_e32 v33, v25
	v_nop
	s_delay_alu instid0(TRANS32_DEP_1) | instskip(NEXT) | instid1(VALU_DEP_1)
	v_fma_f32 v34, -v25, v33, 1.0
	v_fmac_f32_e32 v33, v34, v33
	v_div_scale_f32 v34, vcc_lo, 1.0, v24, 1.0
	s_delay_alu instid0(VALU_DEP_1) | instskip(NEXT) | instid1(VALU_DEP_1)
	v_mul_f32_e32 v35, v34, v33
	v_fma_f32 v36, -v25, v35, v34
	s_delay_alu instid0(VALU_DEP_1) | instskip(NEXT) | instid1(VALU_DEP_1)
	v_fmac_f32_e32 v35, v36, v33
	v_fma_f32 v25, -v25, v35, v34
	s_delay_alu instid0(VALU_DEP_1) | instskip(NEXT) | instid1(VALU_DEP_1)
	v_div_fmas_f32 v25, v25, v33, v35
                                        ; implicit-def: $vgpr33
	v_div_fixup_f32 v25, v25, v24, 1.0
	s_delay_alu instid0(VALU_DEP_1)
	v_mul_f32_e32 v24, v6, v25
.LBB17_94:                              ;   in Loop: Header=BB17_74 Depth=2
	s_and_not1_saveexec_b32 s71, s71
	s_cbranch_execz .LBB17_96
; %bb.95:                               ;   in Loop: Header=BB17_74 Depth=2
	v_div_scale_f32 v6, null, v32, v32, -v33
	v_div_scale_f32 v34, vcc_lo, -v33, v32, -v33
	s_delay_alu instid0(VALU_DEP_2) | instskip(SKIP_1) | instid1(TRANS32_DEP_1)
	v_rcp_f32_e32 v24, v6
	v_nop
	v_fma_f32 v25, -v6, v24, 1.0
	s_delay_alu instid0(VALU_DEP_1) | instskip(NEXT) | instid1(VALU_DEP_1)
	v_fmac_f32_e32 v24, v25, v24
	v_mul_f32_e32 v25, v34, v24
	s_delay_alu instid0(VALU_DEP_1) | instskip(NEXT) | instid1(VALU_DEP_1)
	v_fma_f32 v35, -v6, v25, v34
	v_fmac_f32_e32 v25, v35, v24
	s_delay_alu instid0(VALU_DEP_1) | instskip(NEXT) | instid1(VALU_DEP_1)
	v_fma_f32 v6, -v6, v25, v34
	v_div_fmas_f32 v6, v6, v24, v25
	s_delay_alu instid0(VALU_DEP_1) | instskip(NEXT) | instid1(VALU_DEP_1)
	v_div_fixup_f32 v6, v6, v32, -v33
	v_fma_f32 v24, v6, v6, 1.0
	s_delay_alu instid0(VALU_DEP_1) | instskip(SKIP_1) | instid1(VALU_DEP_2)
	v_mul_f32_e32 v25, 0x4f800000, v24
	v_cmp_gt_f32_e32 vcc_lo, 0xf800000, v24
	v_cndmask_b32_e32 v24, v24, v25, vcc_lo
	s_delay_alu instid0(VALU_DEP_1) | instskip(SKIP_1) | instid1(TRANS32_DEP_1)
	v_sqrt_f32_e32 v25, v24
	v_nop
	v_dual_add_nc_u32 v33, -1, v25 :: v_dual_add_nc_u32 v34, 1, v25
	s_delay_alu instid0(VALU_DEP_1) | instskip(NEXT) | instid1(VALU_DEP_1)
	v_dual_fma_f32 v35, -v33, v25, v24 :: v_dual_fma_f32 v36, -v34, v25, v24
	v_cmp_ge_f32_e64 s1, 0, v35
	s_delay_alu instid0(VALU_DEP_1) | instskip(NEXT) | instid1(VALU_DEP_3)
	v_cndmask_b32_e64 v25, v25, v33, s1
	v_cmp_lt_f32_e64 s1, 0, v36
	s_delay_alu instid0(VALU_DEP_1) | instskip(NEXT) | instid1(VALU_DEP_1)
	v_cndmask_b32_e64 v25, v25, v34, s1
	v_mul_f32_e32 v33, 0x37800000, v25
	s_delay_alu instid0(VALU_DEP_1) | instskip(SKIP_1) | instid1(VALU_DEP_2)
	v_cndmask_b32_e32 v25, v25, v33, vcc_lo
	v_cmp_class_f32_e64 vcc_lo, v24, 0x260
	v_cndmask_b32_e32 v24, v25, v24, vcc_lo
	s_delay_alu instid0(VALU_DEP_1) | instskip(NEXT) | instid1(VALU_DEP_1)
	v_div_scale_f32 v25, null, v24, v24, 1.0
	v_rcp_f32_e32 v33, v25
	v_nop
	s_delay_alu instid0(TRANS32_DEP_1) | instskip(NEXT) | instid1(VALU_DEP_1)
	v_fma_f32 v34, -v25, v33, 1.0
	v_fmac_f32_e32 v33, v34, v33
	v_div_scale_f32 v34, vcc_lo, 1.0, v24, 1.0
	s_delay_alu instid0(VALU_DEP_1) | instskip(NEXT) | instid1(VALU_DEP_1)
	v_mul_f32_e32 v35, v34, v33
	v_fma_f32 v36, -v25, v35, v34
	s_delay_alu instid0(VALU_DEP_1) | instskip(NEXT) | instid1(VALU_DEP_1)
	v_fmac_f32_e32 v35, v36, v33
	v_fma_f32 v25, -v25, v35, v34
	s_delay_alu instid0(VALU_DEP_1) | instskip(NEXT) | instid1(VALU_DEP_1)
	v_div_fmas_f32 v25, v25, v33, v35
	v_div_fixup_f32 v24, v25, v24, 1.0
	s_delay_alu instid0(VALU_DEP_1)
	v_mul_f32_e32 v25, v6, v24
.LBB17_96:                              ;   in Loop: Header=BB17_74 Depth=2
	s_or_b32 exec_lo, exec_lo, s71
.LBB17_97:                              ;   in Loop: Header=BB17_74 Depth=2
	s_delay_alu instid0(SALU_CYCLE_1)
	s_or_b32 exec_lo, exec_lo, s70
.LBB17_98:                              ;   in Loop: Header=BB17_74 Depth=2
	s_delay_alu instid0(SALU_CYCLE_1)
	s_or_b32 exec_lo, exec_lo, s35
	v_lshl_add_u64 v[36:37], v[26:27], 2, s[18:19]
	v_lshl_add_u64 v[38:39], v[26:27], 2, s[44:45]
	v_xor_b32_e32 v27, 0x80000000, v24
	s_mov_b32 s35, exec_lo
	global_load_b32 v6, v[36:37], off offset:4
	v_lshl_add_u64 v[40:41], s[6:7], 2, v[38:39]
	s_wait_loadcnt 0x0
	v_sub_f32_e32 v6, v6, v23
	s_delay_alu instid0(VALU_DEP_1) | instskip(NEXT) | instid1(VALU_DEP_1)
	v_pk_mul_f32 v[34:35], v[24:25], v[6:7]
	v_dual_fma_f32 v33, v32, v35, -v34 :: v_dual_add_nc_u32 v34, 1, v26
	s_delay_alu instid0(VALU_DEP_1)
	v_dual_mul_f32 v6, v33, -v24 :: v_dual_fma_f32 v23, v33, -v24, v23
	v_fma_f32 v33, v25, v33, -v32
	ds_store_b32 v48, v6 offset:8
	global_store_b32 v[36:37], v23, off
	s_clause 0x1
	global_store_b32 v[38:39], v25, off
	global_store_b32 v[40:41], v27, off offset:-4
	s_wait_xcnt 0x0
	v_cmpx_lt_i32_e64 v34, v22
	s_cbranch_execz .LBB17_115
; %bb.99:                               ;   in Loop: Header=BB17_74 Depth=2
	v_ashrrev_i32_e32 v35, 31, v34
	s_mov_b32 s71, 1
	s_mov_b32 s70, 0
	s_delay_alu instid0(VALU_DEP_1) | instskip(NEXT) | instid1(VALU_DEP_1)
	v_lshlrev_b64_e32 v[38:39], 2, v[34:35]
	v_add_nc_u64_e32 v[34:35], s[44:45], v[38:39]
	v_add_nc_u64_e32 v[36:37], s[58:59], v[38:39]
	;; [unrolled: 1-line block ×3, first 2 shown]
	s_branch .LBB17_101
.LBB17_100:                             ;   in Loop: Header=BB17_101 Depth=3
	global_load_b64 v[32:33], v[38:39], off
	s_add_co_i32 s71, s71, 1
	v_add_nc_u64_e32 v[36:37], 4, v[36:37]
	v_add_nc_u64_e32 v[42:43], s[60:61], v[34:35]
	v_xor_b32_e32 v27, 0x80000000, v40
	s_wait_loadcnt 0x0
	v_dual_mul_f32 v23, v25, v23 :: v_dual_sub_f32 v32, v32, v6
	s_delay_alu instid0(VALU_DEP_1) | instskip(NEXT) | instid1(VALU_DEP_1)
	v_sub_f32_e32 v6, v33, v32
	v_pk_mul_f32 v[24:25], v[40:41], v[6:7]
	s_delay_alu instid0(VALU_DEP_1) | instskip(SKIP_1) | instid1(VALU_DEP_2)
	v_fma_f32 v33, v23, v25, -v24
	v_add_nc_u64_e32 v[24:25], 4, v[38:39]
	v_dual_add_nc_u32 v6, s71, v26 :: v_dual_fma_f32 v32, v33, -v40, v32
	global_store_b32 v[38:39], v32, off
	global_store_b32 v[34:35], v41, off
	v_cmp_ge_i32_e32 vcc_lo, v6, v22
	s_wait_xcnt 0x0
	v_add_nc_u64_e32 v[34:35], 4, v[34:35]
	v_mov_b64_e32 v[38:39], v[24:25]
	v_mul_f32_e64 v6, v33, -v40
	v_dual_fma_f32 v33, v41, v33, -v23 :: v_dual_mov_b32 v25, v41
	s_or_b32 s70, vcc_lo, s70
	global_store_b32 v[42:43], v27, off
	s_wait_xcnt 0x0
	s_and_not1_b32 exec_lo, exec_lo, s70
	s_cbranch_execz .LBB17_114
.LBB17_101:                             ;   Parent Loop BB17_7 Depth=1
                                        ;     Parent Loop BB17_74 Depth=2
                                        ; =>    This Inner Loop Header: Depth=3
	global_load_b32 v23, v[36:37], off offset:4
	v_mov_b32_e32 v41, 1.0
	s_mov_b32 s72, exec_lo
	s_wait_loadcnt 0x0
	v_dual_mov_b32 v40, 0 :: v_dual_mul_f32 v32, v27, v23
	s_wait_xcnt 0x0
	s_delay_alu instid0(VALU_DEP_1)
	v_cmpx_neq_f32_e32 0, v32
	s_cbranch_execz .LBB17_111
; %bb.102:                              ;   in Loop: Header=BB17_101 Depth=3
	v_xor_b32_e32 v24, 0x80000000, v32
                                        ; implicit-def: $vgpr41
	s_mov_b32 s1, exec_lo
	v_cmpx_neq_f32_e32 0, v33
	s_xor_b32 s73, exec_lo, s1
	s_cbranch_execz .LBB17_108
; %bb.103:                              ;   in Loop: Header=BB17_101 Depth=3
	s_mov_b32 s74, exec_lo
                                        ; implicit-def: $vgpr41
	v_cmpx_ngt_f32_e64 |v32|, |v33|
	s_xor_b32 s74, exec_lo, s74
	s_cbranch_execz .LBB17_105
; %bb.104:                              ;   in Loop: Header=BB17_101 Depth=3
	v_div_scale_f32 v24, null, v33, v33, -v32
	v_div_scale_f32 v41, vcc_lo, -v32, v33, -v32
	s_delay_alu instid0(VALU_DEP_2) | instskip(SKIP_1) | instid1(TRANS32_DEP_1)
	v_rcp_f32_e32 v27, v24
	v_nop
	v_fma_f32 v40, -v24, v27, 1.0
	s_delay_alu instid0(VALU_DEP_1) | instskip(NEXT) | instid1(VALU_DEP_1)
	v_fmac_f32_e32 v27, v40, v27
	v_mul_f32_e32 v40, v41, v27
	s_delay_alu instid0(VALU_DEP_1) | instskip(NEXT) | instid1(VALU_DEP_1)
	v_fma_f32 v42, -v24, v40, v41
	v_fmac_f32_e32 v40, v42, v27
	s_delay_alu instid0(VALU_DEP_1) | instskip(NEXT) | instid1(VALU_DEP_1)
	v_fma_f32 v24, -v24, v40, v41
	v_div_fmas_f32 v24, v24, v27, v40
	s_delay_alu instid0(VALU_DEP_1) | instskip(NEXT) | instid1(VALU_DEP_1)
	v_div_fixup_f32 v24, v24, v33, -v32
	v_fma_f32 v27, v24, v24, 1.0
	s_delay_alu instid0(VALU_DEP_1) | instskip(SKIP_1) | instid1(VALU_DEP_2)
	v_mul_f32_e32 v40, 0x4f800000, v27
	v_cmp_gt_f32_e32 vcc_lo, 0xf800000, v27
	v_cndmask_b32_e32 v27, v27, v40, vcc_lo
	s_delay_alu instid0(VALU_DEP_1) | instskip(SKIP_1) | instid1(TRANS32_DEP_1)
	v_sqrt_f32_e32 v40, v27
	v_nop
	v_dual_add_nc_u32 v41, -1, v40 :: v_dual_add_nc_u32 v42, 1, v40
	s_delay_alu instid0(VALU_DEP_1) | instskip(NEXT) | instid1(VALU_DEP_1)
	v_dual_fma_f32 v43, -v41, v40, v27 :: v_dual_fma_f32 v44, -v42, v40, v27
	v_cmp_ge_f32_e64 s1, 0, v43
	s_delay_alu instid0(VALU_DEP_1) | instskip(NEXT) | instid1(VALU_DEP_3)
	v_cndmask_b32_e64 v40, v40, v41, s1
	v_cmp_lt_f32_e64 s1, 0, v44
	s_delay_alu instid0(VALU_DEP_1) | instskip(NEXT) | instid1(VALU_DEP_1)
	v_cndmask_b32_e64 v40, v40, v42, s1
	v_mul_f32_e32 v41, 0x37800000, v40
	s_delay_alu instid0(VALU_DEP_1) | instskip(SKIP_1) | instid1(VALU_DEP_2)
	v_cndmask_b32_e32 v40, v40, v41, vcc_lo
	v_cmp_class_f32_e64 vcc_lo, v27, 0x260
	v_cndmask_b32_e32 v27, v40, v27, vcc_lo
	s_delay_alu instid0(VALU_DEP_1) | instskip(NEXT) | instid1(VALU_DEP_1)
	v_div_scale_f32 v40, null, v27, v27, 1.0
	v_rcp_f32_e32 v41, v40
	v_nop
	s_delay_alu instid0(TRANS32_DEP_1) | instskip(NEXT) | instid1(VALU_DEP_1)
	v_fma_f32 v42, -v40, v41, 1.0
	v_fmac_f32_e32 v41, v42, v41
	v_div_scale_f32 v42, vcc_lo, 1.0, v27, 1.0
	s_delay_alu instid0(VALU_DEP_1) | instskip(NEXT) | instid1(VALU_DEP_1)
	v_mul_f32_e32 v43, v42, v41
	v_fma_f32 v44, -v40, v43, v42
	s_delay_alu instid0(VALU_DEP_1) | instskip(NEXT) | instid1(VALU_DEP_1)
	v_fmac_f32_e32 v43, v44, v41
	v_fma_f32 v40, -v40, v43, v42
	s_delay_alu instid0(VALU_DEP_1) | instskip(NEXT) | instid1(VALU_DEP_1)
	v_div_fmas_f32 v40, v40, v41, v43
	v_div_fixup_f32 v41, v40, v27, 1.0
	s_delay_alu instid0(VALU_DEP_1)
	v_mul_f32_e32 v40, v24, v41
.LBB17_105:                             ;   in Loop: Header=BB17_101 Depth=3
	s_and_not1_saveexec_b32 s74, s74
	s_cbranch_execz .LBB17_107
; %bb.106:                              ;   in Loop: Header=BB17_101 Depth=3
	v_div_scale_f32 v24, null, v32, v32, -v33
	v_div_scale_f32 v41, vcc_lo, -v33, v32, -v33
	s_delay_alu instid0(VALU_DEP_2) | instskip(SKIP_1) | instid1(TRANS32_DEP_1)
	v_rcp_f32_e32 v27, v24
	v_nop
	v_fma_f32 v40, -v24, v27, 1.0
	s_delay_alu instid0(VALU_DEP_1) | instskip(NEXT) | instid1(VALU_DEP_1)
	v_fmac_f32_e32 v27, v40, v27
	v_mul_f32_e32 v40, v41, v27
	s_delay_alu instid0(VALU_DEP_1) | instskip(NEXT) | instid1(VALU_DEP_1)
	v_fma_f32 v42, -v24, v40, v41
	v_fmac_f32_e32 v40, v42, v27
	s_delay_alu instid0(VALU_DEP_1) | instskip(NEXT) | instid1(VALU_DEP_1)
	v_fma_f32 v24, -v24, v40, v41
	v_div_fmas_f32 v24, v24, v27, v40
	s_delay_alu instid0(VALU_DEP_1) | instskip(NEXT) | instid1(VALU_DEP_1)
	v_div_fixup_f32 v24, v24, v32, -v33
	v_fma_f32 v27, v24, v24, 1.0
	s_delay_alu instid0(VALU_DEP_1) | instskip(SKIP_1) | instid1(VALU_DEP_2)
	v_mul_f32_e32 v40, 0x4f800000, v27
	v_cmp_gt_f32_e32 vcc_lo, 0xf800000, v27
	v_cndmask_b32_e32 v27, v27, v40, vcc_lo
	s_delay_alu instid0(VALU_DEP_1) | instskip(SKIP_1) | instid1(TRANS32_DEP_1)
	v_sqrt_f32_e32 v40, v27
	v_nop
	v_dual_add_nc_u32 v41, -1, v40 :: v_dual_add_nc_u32 v42, 1, v40
	s_delay_alu instid0(VALU_DEP_1) | instskip(NEXT) | instid1(VALU_DEP_1)
	v_dual_fma_f32 v43, -v41, v40, v27 :: v_dual_fma_f32 v44, -v42, v40, v27
	v_cmp_ge_f32_e64 s1, 0, v43
	s_delay_alu instid0(VALU_DEP_1) | instskip(NEXT) | instid1(VALU_DEP_3)
	v_cndmask_b32_e64 v40, v40, v41, s1
	v_cmp_lt_f32_e64 s1, 0, v44
	s_delay_alu instid0(VALU_DEP_1) | instskip(NEXT) | instid1(VALU_DEP_1)
	v_cndmask_b32_e64 v40, v40, v42, s1
	v_mul_f32_e32 v41, 0x37800000, v40
	s_delay_alu instid0(VALU_DEP_1) | instskip(SKIP_1) | instid1(VALU_DEP_2)
	v_cndmask_b32_e32 v40, v40, v41, vcc_lo
	v_cmp_class_f32_e64 vcc_lo, v27, 0x260
	v_cndmask_b32_e32 v27, v40, v27, vcc_lo
	s_delay_alu instid0(VALU_DEP_1) | instskip(NEXT) | instid1(VALU_DEP_1)
	v_div_scale_f32 v40, null, v27, v27, 1.0
	v_rcp_f32_e32 v41, v40
	v_nop
	s_delay_alu instid0(TRANS32_DEP_1) | instskip(NEXT) | instid1(VALU_DEP_1)
	v_fma_f32 v42, -v40, v41, 1.0
	v_fmac_f32_e32 v41, v42, v41
	v_div_scale_f32 v42, vcc_lo, 1.0, v27, 1.0
	s_delay_alu instid0(VALU_DEP_1) | instskip(NEXT) | instid1(VALU_DEP_1)
	v_mul_f32_e32 v43, v42, v41
	v_fma_f32 v44, -v40, v43, v42
	s_delay_alu instid0(VALU_DEP_1) | instskip(NEXT) | instid1(VALU_DEP_1)
	v_fmac_f32_e32 v43, v44, v41
	v_fma_f32 v40, -v40, v43, v42
	s_delay_alu instid0(VALU_DEP_1) | instskip(NEXT) | instid1(VALU_DEP_1)
	v_div_fmas_f32 v40, v40, v41, v43
	v_div_fixup_f32 v40, v40, v27, 1.0
	s_delay_alu instid0(VALU_DEP_1)
	v_mul_f32_e32 v41, v24, v40
.LBB17_107:                             ;   in Loop: Header=BB17_101 Depth=3
	s_or_b32 exec_lo, exec_lo, s74
	s_delay_alu instid0(VALU_DEP_1) | instskip(NEXT) | instid1(VALU_DEP_1)
	v_pk_mul_f32 v[32:33], v[32:33], v[40:41]
	v_sub_f32_e32 v24, v33, v32
.LBB17_108:                             ;   in Loop: Header=BB17_101 Depth=3
	s_and_not1_saveexec_b32 s1, s73
; %bb.109:                              ;   in Loop: Header=BB17_101 Depth=3
	v_dual_mov_b32 v40, 1.0 :: v_dual_mov_b32 v41, 0
; %bb.110:                              ;   in Loop: Header=BB17_101 Depth=3
	s_or_b32 exec_lo, exec_lo, s1
	s_delay_alu instid0(VALU_DEP_2)
	v_mov_b32_e32 v33, v24
.LBB17_111:                             ;   in Loop: Header=BB17_101 Depth=3
	s_or_b32 exec_lo, exec_lo, s72
	s_cmp_eq_u32 s71, 0
	s_cbranch_scc1 .LBB17_100
; %bb.112:                              ;   in Loop: Header=BB17_101 Depth=3
	global_store_b32 v[36:37], v33, off
	s_branch .LBB17_100
.LBB17_113:                             ;   in Loop: Header=BB17_74 Depth=2
	ds_store_2addr_b32 v48, v26, v22 offset0:1 offset1:4
	s_cbranch_execz .LBB17_86
	s_branch .LBB17_87
.LBB17_114:                             ;   in Loop: Header=BB17_74 Depth=2
	s_or_b32 exec_lo, exec_lo, s70
	ds_store_b32 v48, v6 offset:8
.LBB17_115:                             ;   in Loop: Header=BB17_74 Depth=2
	s_or_b32 exec_lo, exec_lo, s35
	global_load_b32 v24, v[28:29], off
.LBB17_116:                             ;   in Loop: Header=BB17_74 Depth=2
	s_wait_xcnt 0x0
	s_or_b32 exec_lo, exec_lo, s33
	s_wait_loadcnt 0x0
	v_sub_f32_e32 v6, v24, v6
                                        ; implicit-def: $vgpr26
                                        ; implicit-def: $vgpr22
                                        ; implicit-def: $vgpr24
	global_store_b32 v[28:29], v6, off
	global_store_b32 v[30:31], v33, off offset:-4
                                        ; implicit-def: $vgpr28_vgpr29
                                        ; implicit-def: $vgpr30_vgpr31
.LBB17_117:                             ;   in Loop: Header=BB17_74 Depth=2
	s_wait_xcnt 0x0
	s_and_not1_saveexec_b32 s33, s3
	s_cbranch_execz .LBB17_150
; %bb.118:                              ;   in Loop: Header=BB17_74 Depth=2
	s_clause 0x1
	global_load_b32 v32, v26, s[40:41] scale_offset
	global_load_b32 v25, v26, s[18:19] scale_offset
	s_mov_b32 s3, exec_lo
                                        ; implicit-def: $vgpr6
	s_wait_loadcnt 0x1
	v_add_f32_e32 v23, v32, v32
	s_wait_loadcnt 0x0
	v_sub_f32_e32 v27, v25, v24
	s_delay_alu instid0(VALU_DEP_2) | instskip(SKIP_1) | instid1(VALU_DEP_2)
	v_and_b32_e32 v33, 0x7fffffff, v23
	s_wait_xcnt 0x0
	v_cmpx_ngt_f32_e64 |v27|, |v23|
	s_xor_b32 s3, exec_lo, s3
	s_cbranch_execz .LBB17_124
; %bb.119:                              ;   in Loop: Header=BB17_74 Depth=2
	v_cmp_nlt_f32_e64 s1, |v27|, |v23|
                                        ; implicit-def: $vgpr6
	s_and_saveexec_b32 s35, s1
	s_delay_alu instid0(SALU_CYCLE_1)
	s_xor_b32 s1, exec_lo, s35
	s_cbranch_execz .LBB17_121
; %bb.120:                              ;   in Loop: Header=BB17_74 Depth=2
	v_cvt_f64_f32_e32 v[34:35], v33
                                        ; implicit-def: $vgpr33
	s_delay_alu instid0(VALU_DEP_1) | instskip(NEXT) | instid1(VALU_DEP_1)
	v_mul_f64_e32 v[34:35], 0x3ff6a09e667f3bcd, v[34:35]
	v_cvt_f32_f64_e32 v6, v[34:35]
.LBB17_121:                             ;   in Loop: Header=BB17_74 Depth=2
	s_and_not1_saveexec_b32 s35, s1
	s_cbranch_execz .LBB17_123
; %bb.122:                              ;   in Loop: Header=BB17_74 Depth=2
	v_and_b32_e32 v6, 0x7fffffff, v27
	s_delay_alu instid0(VALU_DEP_1) | instskip(SKIP_1) | instid1(VALU_DEP_2)
	v_div_scale_f32 v34, null, v33, v33, v6
	v_div_scale_f32 v6, vcc_lo, v6, v33, v6
	v_rcp_f32_e32 v35, v34
	v_nop
	s_delay_alu instid0(TRANS32_DEP_1) | instskip(NEXT) | instid1(VALU_DEP_1)
	v_fma_f32 v36, -v34, v35, 1.0
	v_fmac_f32_e32 v35, v36, v35
	s_delay_alu instid0(VALU_DEP_1) | instskip(NEXT) | instid1(VALU_DEP_1)
	v_mul_f32_e32 v33, v6, v35
	v_fma_f32 v36, -v34, v33, v6
	s_delay_alu instid0(VALU_DEP_1) | instskip(NEXT) | instid1(VALU_DEP_1)
	v_fmac_f32_e32 v33, v36, v35
	v_fma_f32 v6, -v34, v33, v6
	s_delay_alu instid0(VALU_DEP_1) | instskip(NEXT) | instid1(VALU_DEP_1)
	v_div_fmas_f32 v6, v6, v35, v33
	v_div_fixup_f32 v6, v6, |v23|, |v27|
	s_delay_alu instid0(VALU_DEP_1) | instskip(NEXT) | instid1(VALU_DEP_1)
	v_fma_f32 v6, v6, v6, 1.0
	v_mul_f32_e32 v33, 0x4f800000, v6
	v_cmp_gt_f32_e32 vcc_lo, 0xf800000, v6
	s_delay_alu instid0(VALU_DEP_2) | instskip(NEXT) | instid1(VALU_DEP_1)
	v_cndmask_b32_e32 v6, v6, v33, vcc_lo
	v_sqrt_f32_e32 v33, v6
	v_nop
	s_delay_alu instid0(TRANS32_DEP_1) | instskip(NEXT) | instid1(VALU_DEP_1)
	v_dual_add_nc_u32 v34, -1, v33 :: v_dual_add_nc_u32 v35, 1, v33
	v_dual_fma_f32 v36, -v34, v33, v6 :: v_dual_fma_f32 v37, -v35, v33, v6
	s_delay_alu instid0(VALU_DEP_1) | instskip(NEXT) | instid1(VALU_DEP_1)
	v_cmp_ge_f32_e64 s1, 0, v36
	v_cndmask_b32_e64 v33, v33, v34, s1
	s_delay_alu instid0(VALU_DEP_3) | instskip(NEXT) | instid1(VALU_DEP_1)
	v_cmp_lt_f32_e64 s1, 0, v37
	v_cndmask_b32_e64 v33, v33, v35, s1
	s_delay_alu instid0(VALU_DEP_1) | instskip(NEXT) | instid1(VALU_DEP_1)
	v_mul_f32_e32 v34, 0x37800000, v33
	v_cndmask_b32_e32 v33, v33, v34, vcc_lo
	v_cmp_class_f32_e64 vcc_lo, v6, 0x260
	s_delay_alu instid0(VALU_DEP_2) | instskip(NEXT) | instid1(VALU_DEP_1)
	v_cndmask_b32_e32 v6, v33, v6, vcc_lo
	v_mul_f32_e64 v6, |v23|, v6
.LBB17_123:                             ;   in Loop: Header=BB17_74 Depth=2
	s_or_b32 exec_lo, exec_lo, s35
                                        ; implicit-def: $vgpr33
.LBB17_124:                             ;   in Loop: Header=BB17_74 Depth=2
	s_and_not1_saveexec_b32 s3, s3
	s_cbranch_execz .LBB17_126
; %bb.125:                              ;   in Loop: Header=BB17_74 Depth=2
	v_and_b32_e32 v6, 0x7fffffff, v27
	s_delay_alu instid0(VALU_DEP_1) | instskip(SKIP_1) | instid1(VALU_DEP_2)
	v_div_scale_f32 v34, null, v6, v6, v33
	v_div_scale_f32 v6, vcc_lo, v33, v6, v33
	v_rcp_f32_e32 v35, v34
	v_nop
	s_delay_alu instid0(TRANS32_DEP_1) | instskip(NEXT) | instid1(VALU_DEP_1)
	v_fma_f32 v36, -v34, v35, 1.0
	v_fmac_f32_e32 v35, v36, v35
	s_delay_alu instid0(VALU_DEP_1) | instskip(NEXT) | instid1(VALU_DEP_1)
	v_mul_f32_e32 v33, v6, v35
	v_fma_f32 v36, -v34, v33, v6
	s_delay_alu instid0(VALU_DEP_1) | instskip(NEXT) | instid1(VALU_DEP_1)
	v_fmac_f32_e32 v33, v36, v35
	v_fma_f32 v6, -v34, v33, v6
	s_delay_alu instid0(VALU_DEP_1) | instskip(NEXT) | instid1(VALU_DEP_1)
	v_div_fmas_f32 v6, v6, v35, v33
	v_div_fixup_f32 v6, v6, |v27|, |v23|
	s_delay_alu instid0(VALU_DEP_1) | instskip(NEXT) | instid1(VALU_DEP_1)
	v_fma_f32 v6, v6, v6, 1.0
	v_mul_f32_e32 v33, 0x4f800000, v6
	v_cmp_gt_f32_e32 vcc_lo, 0xf800000, v6
	s_delay_alu instid0(VALU_DEP_2) | instskip(NEXT) | instid1(VALU_DEP_1)
	v_cndmask_b32_e32 v6, v6, v33, vcc_lo
	v_sqrt_f32_e32 v33, v6
	v_nop
	s_delay_alu instid0(TRANS32_DEP_1) | instskip(NEXT) | instid1(VALU_DEP_1)
	v_dual_add_nc_u32 v34, -1, v33 :: v_dual_add_nc_u32 v35, 1, v33
	v_dual_fma_f32 v36, -v34, v33, v6 :: v_dual_fma_f32 v37, -v35, v33, v6
	s_delay_alu instid0(VALU_DEP_1) | instskip(NEXT) | instid1(VALU_DEP_1)
	v_cmp_ge_f32_e64 s1, 0, v36
	v_cndmask_b32_e64 v33, v33, v34, s1
	s_delay_alu instid0(VALU_DEP_3) | instskip(NEXT) | instid1(VALU_DEP_1)
	v_cmp_lt_f32_e64 s1, 0, v37
	v_cndmask_b32_e64 v33, v33, v35, s1
	s_delay_alu instid0(VALU_DEP_1) | instskip(NEXT) | instid1(VALU_DEP_1)
	v_mul_f32_e32 v34, 0x37800000, v33
	v_cndmask_b32_e32 v33, v33, v34, vcc_lo
	v_cmp_class_f32_e64 vcc_lo, v6, 0x260
	s_delay_alu instid0(VALU_DEP_2) | instskip(NEXT) | instid1(VALU_DEP_1)
	v_cndmask_b32_e32 v6, v33, v6, vcc_lo
	v_mul_f32_e64 v6, |v27|, v6
.LBB17_126:                             ;   in Loop: Header=BB17_74 Depth=2
	s_or_b32 exec_lo, exec_lo, s3
	v_cmp_gt_f32_e64 vcc_lo, |v25|, |v24|
	v_add_f32_e32 v35, v24, v25
	s_mov_b32 s1, exec_lo
	v_dual_cndmask_b32 v34, v25, v24, vcc_lo :: v_dual_cndmask_b32 v36, v24, v25, vcc_lo
                                        ; implicit-def: $vgpr24_vgpr25
	s_delay_alu instid0(VALU_DEP_2)
	v_cmpx_ngt_f32_e32 0, v35
	s_xor_b32 s3, exec_lo, s1
	s_cbranch_execz .LBB17_132
; %bb.127:                              ;   in Loop: Header=BB17_74 Depth=2
	s_mov_b32 s1, exec_lo
                                        ; implicit-def: $vgpr24_vgpr25
	v_cmpx_nlt_f32_e32 0, v35
	s_xor_b32 s1, exec_lo, s1
; %bb.128:                              ;   in Loop: Header=BB17_74 Depth=2
	v_pk_mul_f32 v[24:25], v[6:7], v[4:5] op_sel_hi:[0,1]
                                        ; implicit-def: $vgpr35
                                        ; implicit-def: $vgpr36
                                        ; implicit-def: $vgpr34
                                        ; implicit-def: $vgpr32
; %bb.129:                              ;   in Loop: Header=BB17_74 Depth=2
	s_and_not1_saveexec_b32 s35, s1
	s_cbranch_execz .LBB17_131
; %bb.130:                              ;   in Loop: Header=BB17_74 Depth=2
	v_add_f32_e32 v24, v35, v6
	v_cvt_f64_f32_e32 v[36:37], v36
	v_cvt_f64_f32_e32 v[32:33], v32
	;; [unrolled: 1-line block ×3, first 2 shown]
	s_delay_alu instid0(VALU_DEP_4) | instskip(NEXT) | instid1(VALU_DEP_1)
	v_mul_f32_e32 v24, 0.5, v24
	v_cvt_f64_f32_e32 v[38:39], v24
	s_delay_alu instid0(VALU_DEP_1) | instskip(SKIP_2) | instid1(VALU_DEP_3)
	v_div_scale_f64 v[40:41], null, v[38:39], v[38:39], v[36:37]
	v_div_scale_f64 v[42:43], null, v[38:39], v[38:39], v[32:33]
	v_div_scale_f64 v[56:57], vcc_lo, v[36:37], v[38:39], v[36:37]
	v_rcp_f64_e32 v[44:45], v[40:41]
	s_delay_alu instid0(VALU_DEP_2) | instskip(NEXT) | instid1(TRANS32_DEP_2)
	v_rcp_f64_e32 v[46:47], v[42:43]
	v_fma_f64 v[52:53], -v[40:41], v[44:45], 1.0
	s_delay_alu instid0(TRANS32_DEP_1) | instskip(NEXT) | instid1(VALU_DEP_2)
	v_fma_f64 v[54:55], -v[42:43], v[46:47], 1.0
	v_fmac_f64_e32 v[44:45], v[44:45], v[52:53]
	s_delay_alu instid0(VALU_DEP_2) | instskip(NEXT) | instid1(VALU_DEP_2)
	v_fmac_f64_e32 v[46:47], v[46:47], v[54:55]
	v_fma_f64 v[52:53], -v[40:41], v[44:45], 1.0
	s_delay_alu instid0(VALU_DEP_2) | instskip(NEXT) | instid1(VALU_DEP_2)
	v_fma_f64 v[54:55], -v[42:43], v[46:47], 1.0
	v_fmac_f64_e32 v[44:45], v[44:45], v[52:53]
	v_div_scale_f64 v[52:53], s1, v[32:33], v[38:39], v[32:33]
	s_delay_alu instid0(VALU_DEP_3) | instskip(NEXT) | instid1(VALU_DEP_3)
	v_fmac_f64_e32 v[46:47], v[46:47], v[54:55]
	v_mul_f64_e32 v[54:55], v[56:57], v[44:45]
	s_delay_alu instid0(VALU_DEP_2) | instskip(NEXT) | instid1(VALU_DEP_2)
	v_mul_f64_e32 v[58:59], v[52:53], v[46:47]
	v_fma_f64 v[40:41], -v[40:41], v[54:55], v[56:57]
	s_delay_alu instid0(VALU_DEP_2) | instskip(NEXT) | instid1(VALU_DEP_2)
	v_fma_f64 v[42:43], -v[42:43], v[58:59], v[52:53]
	v_div_fmas_f64 v[40:41], v[40:41], v[44:45], v[54:55]
	s_mov_b32 vcc_lo, s1
	s_delay_alu instid0(VALU_DEP_2) | instskip(NEXT) | instid1(VALU_DEP_2)
	v_div_fmas_f64 v[42:43], v[42:43], v[46:47], v[58:59]
	v_div_fixup_f64 v[36:37], v[40:41], v[38:39], v[36:37]
	s_delay_alu instid0(VALU_DEP_2) | instskip(NEXT) | instid1(VALU_DEP_1)
	v_div_fixup_f64 v[42:43], v[42:43], v[38:39], v[32:33]
	v_mul_f64_e32 v[32:33], v[42:43], v[32:33]
	s_delay_alu instid0(VALU_DEP_1) | instskip(NEXT) | instid1(VALU_DEP_1)
	v_fma_f64 v[32:33], v[36:37], v[34:35], -v[32:33]
	v_cvt_f32_f64_e32 v25, v[32:33]
.LBB17_131:                             ;   in Loop: Header=BB17_74 Depth=2
	s_or_b32 exec_lo, exec_lo, s35
                                        ; implicit-def: $vgpr35
                                        ; implicit-def: $vgpr36
                                        ; implicit-def: $vgpr34
                                        ; implicit-def: $vgpr32
.LBB17_132:                             ;   in Loop: Header=BB17_74 Depth=2
	s_or_saveexec_b32 s3, s3
	v_mov_b32_e32 v33, 1
	s_xor_b32 exec_lo, exec_lo, s3
	s_cbranch_execz .LBB17_134
; %bb.133:                              ;   in Loop: Header=BB17_74 Depth=2
	v_sub_f32_e32 v24, v35, v6
	v_cvt_f64_f32_e32 v[36:37], v36
	v_cvt_f64_f32_e32 v[32:33], v32
	;; [unrolled: 1-line block ×3, first 2 shown]
	s_delay_alu instid0(VALU_DEP_4) | instskip(NEXT) | instid1(VALU_DEP_1)
	v_mul_f32_e32 v24, 0.5, v24
	v_cvt_f64_f32_e32 v[38:39], v24
	s_delay_alu instid0(VALU_DEP_1) | instskip(SKIP_2) | instid1(VALU_DEP_3)
	v_div_scale_f64 v[40:41], null, v[38:39], v[38:39], v[36:37]
	v_div_scale_f64 v[42:43], null, v[38:39], v[38:39], v[32:33]
	v_div_scale_f64 v[56:57], vcc_lo, v[36:37], v[38:39], v[36:37]
	v_rcp_f64_e32 v[44:45], v[40:41]
	s_delay_alu instid0(VALU_DEP_2) | instskip(NEXT) | instid1(TRANS32_DEP_2)
	v_rcp_f64_e32 v[46:47], v[42:43]
	v_fma_f64 v[52:53], -v[40:41], v[44:45], 1.0
	s_delay_alu instid0(TRANS32_DEP_1) | instskip(NEXT) | instid1(VALU_DEP_2)
	v_fma_f64 v[54:55], -v[42:43], v[46:47], 1.0
	v_fmac_f64_e32 v[44:45], v[44:45], v[52:53]
	s_delay_alu instid0(VALU_DEP_2) | instskip(NEXT) | instid1(VALU_DEP_2)
	v_fmac_f64_e32 v[46:47], v[46:47], v[54:55]
	v_fma_f64 v[52:53], -v[40:41], v[44:45], 1.0
	s_delay_alu instid0(VALU_DEP_2) | instskip(NEXT) | instid1(VALU_DEP_2)
	v_fma_f64 v[54:55], -v[42:43], v[46:47], 1.0
	v_fmac_f64_e32 v[44:45], v[44:45], v[52:53]
	v_div_scale_f64 v[52:53], s1, v[32:33], v[38:39], v[32:33]
	s_delay_alu instid0(VALU_DEP_3) | instskip(NEXT) | instid1(VALU_DEP_3)
	v_fmac_f64_e32 v[46:47], v[46:47], v[54:55]
	v_mul_f64_e32 v[54:55], v[56:57], v[44:45]
	s_delay_alu instid0(VALU_DEP_2) | instskip(NEXT) | instid1(VALU_DEP_2)
	v_mul_f64_e32 v[58:59], v[52:53], v[46:47]
	v_fma_f64 v[40:41], -v[40:41], v[54:55], v[56:57]
	s_delay_alu instid0(VALU_DEP_2) | instskip(NEXT) | instid1(VALU_DEP_2)
	v_fma_f64 v[42:43], -v[42:43], v[58:59], v[52:53]
	v_div_fmas_f64 v[40:41], v[40:41], v[44:45], v[54:55]
	s_mov_b32 vcc_lo, s1
	s_delay_alu instid0(VALU_DEP_2) | instskip(NEXT) | instid1(VALU_DEP_2)
	v_div_fmas_f64 v[42:43], v[42:43], v[46:47], v[58:59]
	v_div_fixup_f64 v[36:37], v[40:41], v[38:39], v[36:37]
	s_delay_alu instid0(VALU_DEP_2) | instskip(NEXT) | instid1(VALU_DEP_1)
	v_div_fixup_f64 v[42:43], v[42:43], v[38:39], v[32:33]
	v_mul_f64_e32 v[32:33], v[42:43], v[32:33]
	s_delay_alu instid0(VALU_DEP_1) | instskip(NEXT) | instid1(VALU_DEP_1)
	v_fma_f64 v[32:33], v[36:37], v[34:35], -v[32:33]
	v_cvt_f32_f64_e32 v25, v[32:33]
	v_mov_b32_e32 v33, -1
.LBB17_134:                             ;   in Loop: Header=BB17_74 Depth=2
	s_or_b32 exec_lo, exec_lo, s3
	v_cmp_nle_f32_e64 s1, 0, v27
	s_mov_b32 s35, exec_lo
                                        ; implicit-def: $vgpr32
                                        ; implicit-def: $vgpr34
	v_cndmask_b32_e64 v6, v6, -v6, s1
	s_delay_alu instid0(VALU_DEP_1) | instskip(NEXT) | instid1(VALU_DEP_1)
	v_add_f32_e32 v6, v27, v6
	v_cmpx_ngt_f32_e64 |v6|, |v23|
	s_xor_b32 s35, exec_lo, s35
	s_cbranch_execz .LBB17_138
; %bb.135:                              ;   in Loop: Header=BB17_74 Depth=2
	v_dual_mov_b32 v32, 0 :: v_dual_mov_b32 v34, 1.0
	s_mov_b32 s70, exec_lo
	v_cmpx_neq_f32_e32 0, v23
	s_cbranch_execz .LBB17_137
; %bb.136:                              ;   in Loop: Header=BB17_74 Depth=2
	v_div_scale_f32 v27, null, v23, v23, -v6
	v_div_scale_f32 v35, vcc_lo, -v6, v23, -v6
	s_delay_alu instid0(VALU_DEP_2) | instskip(SKIP_1) | instid1(TRANS32_DEP_1)
	v_rcp_f32_e32 v32, v27
	v_nop
	v_fma_f32 v34, -v27, v32, 1.0
	s_delay_alu instid0(VALU_DEP_1) | instskip(NEXT) | instid1(VALU_DEP_1)
	v_fmac_f32_e32 v32, v34, v32
	v_mul_f32_e32 v34, v35, v32
	s_delay_alu instid0(VALU_DEP_1) | instskip(NEXT) | instid1(VALU_DEP_1)
	v_fma_f32 v36, -v27, v34, v35
	v_fmac_f32_e32 v34, v36, v32
	s_delay_alu instid0(VALU_DEP_1) | instskip(NEXT) | instid1(VALU_DEP_1)
	v_fma_f32 v27, -v27, v34, v35
	v_div_fmas_f32 v27, v27, v32, v34
	s_delay_alu instid0(VALU_DEP_1) | instskip(NEXT) | instid1(VALU_DEP_1)
	v_div_fixup_f32 v6, v27, v23, -v6
	v_fma_f32 v23, v6, v6, 1.0
	s_delay_alu instid0(VALU_DEP_1) | instskip(SKIP_1) | instid1(VALU_DEP_2)
	v_mul_f32_e32 v27, 0x4f800000, v23
	v_cmp_gt_f32_e32 vcc_lo, 0xf800000, v23
	v_cndmask_b32_e32 v23, v23, v27, vcc_lo
	s_delay_alu instid0(VALU_DEP_1) | instskip(SKIP_1) | instid1(TRANS32_DEP_1)
	v_sqrt_f32_e32 v27, v23
	v_nop
	v_dual_add_nc_u32 v32, -1, v27 :: v_dual_add_nc_u32 v34, 1, v27
	s_delay_alu instid0(VALU_DEP_1) | instskip(NEXT) | instid1(VALU_DEP_1)
	v_dual_fma_f32 v35, -v32, v27, v23 :: v_dual_fma_f32 v36, -v34, v27, v23
	v_cmp_ge_f32_e64 s3, 0, v35
	s_delay_alu instid0(VALU_DEP_1) | instskip(NEXT) | instid1(VALU_DEP_3)
	v_cndmask_b32_e64 v27, v27, v32, s3
	v_cmp_lt_f32_e64 s3, 0, v36
	s_delay_alu instid0(VALU_DEP_1) | instskip(NEXT) | instid1(VALU_DEP_1)
	v_cndmask_b32_e64 v27, v27, v34, s3
	v_mul_f32_e32 v32, 0x37800000, v27
	s_delay_alu instid0(VALU_DEP_1) | instskip(SKIP_1) | instid1(VALU_DEP_2)
	v_cndmask_b32_e32 v27, v27, v32, vcc_lo
	v_cmp_class_f32_e64 vcc_lo, v23, 0x260
	v_cndmask_b32_e32 v23, v27, v23, vcc_lo
	s_delay_alu instid0(VALU_DEP_1) | instskip(NEXT) | instid1(VALU_DEP_1)
	v_div_scale_f32 v27, null, v23, v23, 1.0
	v_rcp_f32_e32 v32, v27
	v_nop
	s_delay_alu instid0(TRANS32_DEP_1) | instskip(NEXT) | instid1(VALU_DEP_1)
	v_fma_f32 v34, -v27, v32, 1.0
	v_fmac_f32_e32 v32, v34, v32
	v_div_scale_f32 v34, vcc_lo, 1.0, v23, 1.0
	s_delay_alu instid0(VALU_DEP_1) | instskip(NEXT) | instid1(VALU_DEP_1)
	v_mul_f32_e32 v35, v34, v32
	v_fma_f32 v36, -v27, v35, v34
	s_delay_alu instid0(VALU_DEP_1) | instskip(NEXT) | instid1(VALU_DEP_1)
	v_fmac_f32_e32 v35, v36, v32
	v_fma_f32 v27, -v27, v35, v34
	s_delay_alu instid0(VALU_DEP_1) | instskip(NEXT) | instid1(VALU_DEP_1)
	v_div_fmas_f32 v27, v27, v32, v35
	v_div_fixup_f32 v34, v27, v23, 1.0
	s_delay_alu instid0(VALU_DEP_1)
	v_mul_f32_e32 v32, v6, v34
.LBB17_137:                             ;   in Loop: Header=BB17_74 Depth=2
	s_or_b32 exec_lo, exec_lo, s70
                                        ; implicit-def: $vgpr6
                                        ; implicit-def: $vgpr23
.LBB17_138:                             ;   in Loop: Header=BB17_74 Depth=2
	s_and_not1_saveexec_b32 s35, s35
	s_cbranch_execz .LBB17_140
; %bb.139:                              ;   in Loop: Header=BB17_74 Depth=2
	v_div_scale_f32 v27, null, v6, v6, -v23
	v_div_scale_f32 v35, vcc_lo, -v23, v6, -v23
	s_delay_alu instid0(VALU_DEP_2) | instskip(SKIP_1) | instid1(TRANS32_DEP_1)
	v_rcp_f32_e32 v32, v27
	v_nop
	v_fma_f32 v34, -v27, v32, 1.0
	s_delay_alu instid0(VALU_DEP_1) | instskip(NEXT) | instid1(VALU_DEP_1)
	v_fmac_f32_e32 v32, v34, v32
	v_mul_f32_e32 v34, v35, v32
	s_delay_alu instid0(VALU_DEP_1) | instskip(NEXT) | instid1(VALU_DEP_1)
	v_fma_f32 v36, -v27, v34, v35
	v_fmac_f32_e32 v34, v36, v32
	s_delay_alu instid0(VALU_DEP_1) | instskip(NEXT) | instid1(VALU_DEP_1)
	v_fma_f32 v27, -v27, v34, v35
	v_div_fmas_f32 v27, v27, v32, v34
	s_delay_alu instid0(VALU_DEP_1) | instskip(NEXT) | instid1(VALU_DEP_1)
	v_div_fixup_f32 v6, v27, v6, -v23
	v_fma_f32 v23, v6, v6, 1.0
	s_delay_alu instid0(VALU_DEP_1) | instskip(SKIP_1) | instid1(VALU_DEP_2)
	v_mul_f32_e32 v27, 0x4f800000, v23
	v_cmp_gt_f32_e32 vcc_lo, 0xf800000, v23
	v_cndmask_b32_e32 v23, v23, v27, vcc_lo
	s_delay_alu instid0(VALU_DEP_1) | instskip(SKIP_1) | instid1(TRANS32_DEP_1)
	v_sqrt_f32_e32 v27, v23
	v_nop
	v_dual_add_nc_u32 v32, -1, v27 :: v_dual_add_nc_u32 v34, 1, v27
	s_delay_alu instid0(VALU_DEP_1) | instskip(NEXT) | instid1(VALU_DEP_1)
	v_dual_fma_f32 v35, -v32, v27, v23 :: v_dual_fma_f32 v36, -v34, v27, v23
	v_cmp_ge_f32_e64 s3, 0, v35
	s_delay_alu instid0(VALU_DEP_1) | instskip(NEXT) | instid1(VALU_DEP_3)
	v_cndmask_b32_e64 v27, v27, v32, s3
	v_cmp_lt_f32_e64 s3, 0, v36
	s_delay_alu instid0(VALU_DEP_1) | instskip(NEXT) | instid1(VALU_DEP_1)
	v_cndmask_b32_e64 v27, v27, v34, s3
	v_mul_f32_e32 v32, 0x37800000, v27
	s_delay_alu instid0(VALU_DEP_1) | instskip(SKIP_1) | instid1(VALU_DEP_2)
	v_cndmask_b32_e32 v27, v27, v32, vcc_lo
	v_cmp_class_f32_e64 vcc_lo, v23, 0x260
	v_cndmask_b32_e32 v23, v27, v23, vcc_lo
	s_delay_alu instid0(VALU_DEP_1) | instskip(NEXT) | instid1(VALU_DEP_1)
	v_div_scale_f32 v27, null, v23, v23, 1.0
	v_rcp_f32_e32 v32, v27
	v_nop
	s_delay_alu instid0(TRANS32_DEP_1) | instskip(NEXT) | instid1(VALU_DEP_1)
	v_fma_f32 v34, -v27, v32, 1.0
	v_fmac_f32_e32 v32, v34, v32
	v_div_scale_f32 v34, vcc_lo, 1.0, v23, 1.0
	s_delay_alu instid0(VALU_DEP_1) | instskip(NEXT) | instid1(VALU_DEP_1)
	v_mul_f32_e32 v35, v34, v32
	v_fma_f32 v36, -v27, v35, v34
	s_delay_alu instid0(VALU_DEP_1) | instskip(NEXT) | instid1(VALU_DEP_1)
	v_fmac_f32_e32 v35, v36, v32
	v_fma_f32 v27, -v27, v35, v34
	s_delay_alu instid0(VALU_DEP_1) | instskip(NEXT) | instid1(VALU_DEP_1)
	v_div_fmas_f32 v27, v27, v32, v35
	v_div_fixup_f32 v32, v27, v23, 1.0
	s_delay_alu instid0(VALU_DEP_1)
	v_mul_f32_e32 v34, v6, v32
.LBB17_140:                             ;   in Loop: Header=BB17_74 Depth=2
	s_or_b32 exec_lo, exec_lo, s35
	v_cndmask_b32_e64 v6, 1, -1, s1
	v_add_nc_u32_e32 v22, -2, v22
	v_lshl_add_u64 v[30:31], v[30:31], 2, s[40:41]
	s_delay_alu instid0(VALU_DEP_3) | instskip(SKIP_1) | instid1(VALU_DEP_1)
	v_cmp_eq_u32_e32 vcc_lo, v33, v6
	v_dual_ashrrev_i32 v27, 31, v26 :: v_dual_cndmask_b32 v6, v34, -v32, vcc_lo
	v_lshl_add_u64 v[26:27], v[26:27], 2, s[44:45]
	v_cndmask_b32_e32 v23, v32, v34, vcc_lo
	s_delay_alu instid0(VALU_DEP_2)
	v_lshl_add_u64 v[32:33], s[6:7], 2, v[26:27]
	s_clause 0x1
	global_store_b32 v[26:27], v6, off
	global_store_b32 v[32:33], v23, off offset:-4
	global_store_b64 v[28:29], v[24:25], off offset:-4
	global_store_b32 v[30:31], v48, off offset:-4
	ds_store_b32 v48, v22
	s_wait_xcnt 0x0
	s_or_b32 exec_lo, exec_lo, s33
                                        ; implicit-def: $vgpr6
.LBB17_141:                             ;   in Loop: Header=BB17_74 Depth=2
	s_and_not1_saveexec_b32 s1, s31
.LBB17_142:                             ;   in Loop: Header=BB17_74 Depth=2
	ds_store_b32 v48, v6
.LBB17_143:                             ;   in Loop: Header=BB17_74 Depth=2
	s_or_b32 exec_lo, exec_lo, s1
.LBB17_144:                             ;   in Loop: Header=BB17_74 Depth=2
	s_delay_alu instid0(SALU_CYCLE_1)
	s_or_b32 exec_lo, exec_lo, s4
	s_wait_storecnt_dscnt 0x0
	s_barrier_signal -1
	s_barrier_wait -1
	ds_load_b64 v[22:23], v48
	s_wait_dscnt 0x0
	v_readfirstlane_b32 s72, v23
	s_delay_alu instid0(VALU_DEP_1)
	v_cmp_eq_u32_e32 vcc_lo, s72, v22
	v_mov_b32_e32 v22, s72
	s_cbranch_vccnz .LBB17_73
; %bb.145:                              ;   in Loop: Header=BB17_74 Depth=2
	s_and_saveexec_b32 s1, s0
	s_cbranch_execz .LBB17_72
; %bb.146:                              ;   in Loop: Header=BB17_74 Depth=2
	ds_load_b32 v6, v48 offset:16
	s_mul_i32 s74, s72, s11
	s_ashr_i32 s73, s72, 31
	s_ashr_i32 s75, s74, 31
	s_lshl_b64 s[70:71], s[72:73], 2
	s_lshl_b64 s[76:77], s[74:75], 3
	v_mov_b32_e32 v24, v0
	v_add_nc_u64_e32 v[22:23], s[76:77], v[2:3]
	s_add_nc_u64 s[74:75], s[42:43], s[76:77]
	s_add_nc_u64 s[70:71], s[44:45], s[70:71]
	s_mov_b32 s4, 0
	s_wait_dscnt 0x0
	v_readfirstlane_b32 s3, v6
	s_sub_co_i32 s72, s3, s72
	s_delay_alu instid0(SALU_CYCLE_1) | instskip(SKIP_2) | instid1(SALU_CYCLE_1)
	s_cmp_gt_i32 s72, 0
	s_cselect_b32 s3, -1, 0
	s_ashr_i32 s73, s72, 31
	s_mul_u64 s[76:77], s[72:73], s[46:47]
	s_delay_alu instid0(SALU_CYCLE_1) | instskip(NEXT) | instid1(SALU_CYCLE_1)
	s_lshl_b64 s[76:77], s[76:77], 3
	s_add_nc_u64 s[76:77], s[74:75], s[76:77]
	s_branch .LBB17_148
.LBB17_147:                             ;   in Loop: Header=BB17_148 Depth=3
	v_ashrrev_i32_e32 v25, 31, v24
	v_add_nc_u64_e32 v[22:23], s[64:65], v[22:23]
	s_delay_alu instid0(VALU_DEP_2)
	v_lshl_add_u64 v[28:29], v[24:25], 3, s[76:77]
	s_wait_xcnt 0x0
	v_add_nc_u32_e32 v24, s30, v24
	s_wait_loadcnt 0x0
	global_store_b64 v[28:29], v[26:27], off
	v_cmp_le_i32_e32 vcc_lo, s6, v24
	s_or_b32 s4, vcc_lo, s4
	s_wait_xcnt 0x0
	s_and_not1_b32 exec_lo, exec_lo, s4
	s_cbranch_execz .LBB17_72
.LBB17_148:                             ;   Parent Loop BB17_7 Depth=1
                                        ;     Parent Loop BB17_74 Depth=2
                                        ; =>    This Loop Header: Depth=3
                                        ;         Child Loop BB17_149 Depth 4
	global_load_b64 v[26:27], v24, s[74:75] scale_offset
	v_mov_b64_e32 v[28:29], v[22:23]
	s_and_not1_b32 vcc_lo, exec_lo, s3
	s_mov_b64 s[78:79], s[70:71]
	s_mov_b32 s31, s72
	s_cbranch_vccnz .LBB17_147
.LBB17_149:                             ;   Parent Loop BB17_7 Depth=1
                                        ;     Parent Loop BB17_74 Depth=2
                                        ;       Parent Loop BB17_148 Depth=3
                                        ; =>      This Inner Loop Header: Depth=4
	s_delay_alu instid0(VALU_DEP_1)
	v_add_nc_u64_e32 v[30:31], s[62:63], v[28:29]
	s_add_nc_u64 s[80:81], s[78:79], s[60:61]
	s_add_co_i32 s31, s31, -1
	global_load_b64 v[32:33], v[30:31], off
	s_clause 0x1
	global_load_b32 v6, v48, s[80:81]
	global_load_b32 v34, v48, s[78:79]
	s_cmp_eq_u32 s31, 0
	s_wait_xcnt 0x0
	s_add_nc_u64 s[78:79], s[78:79], 4
	s_wait_loadcnt 0x1
	v_pk_mul_f32 v[36:37], v[6:7], v[32:33] op_sel_hi:[0,1]
	v_pk_mul_f32 v[38:39], v[26:27], v[6:7] op_sel_hi:[1,0]
	s_wait_loadcnt 0x0
	s_delay_alu instid0(VALU_DEP_2) | instskip(NEXT) | instid1(VALU_DEP_2)
	v_pk_fma_f32 v[36:37], v[26:27], v[34:35], v[36:37] op_sel_hi:[1,0,1]
	v_pk_fma_f32 v[26:27], v[34:35], v[32:33], v[38:39] op_sel_hi:[0,1,1] neg_lo:[0,0,1] neg_hi:[0,0,1]
	global_store_b64 v[28:29], v[36:37], off
	s_wait_xcnt 0x0
	v_mov_b64_e32 v[28:29], v[30:31]
	s_cbranch_scc0 .LBB17_149
	s_branch .LBB17_147
.LBB17_150:                             ;   in Loop: Header=BB17_74 Depth=2
	s_or_b32 exec_lo, exec_lo, s33
                                        ; implicit-def: $vgpr6
	s_and_not1_saveexec_b32 s1, s31
	s_cbranch_execnz .LBB17_142
	s_branch .LBB17_143
.LBB17_151:                             ;   in Loop: Header=BB17_153 Depth=2
	s_or_b32 exec_lo, exec_lo, s3
	s_wait_storecnt 0x0
	s_barrier_signal -1
	s_barrier_wait -1
	ds_load_b32 v30, v48
.LBB17_152:                             ;   in Loop: Header=BB17_153 Depth=2
	ds_load_2addr_b32 v[38:39], v48 offset0:5 offset1:7
	s_wait_dscnt 0x0
	v_cmp_le_i32_e32 vcc_lo, v30, v38
	v_cmp_gt_i32_e64 s3, s24, v39
	s_and_b32 s3, vcc_lo, s3
	s_delay_alu instid0(SALU_CYCLE_1)
	s_and_not1_b32 vcc_lo, exec_lo, s3
	s_cbranch_vccnz .LBB17_56
.LBB17_153:                             ;   Parent Loop BB17_7 Depth=1
                                        ; =>  This Loop Header: Depth=2
                                        ;       Child Loop BB17_159 Depth 3
                                        ;       Child Loop BB17_179 Depth 3
	;; [unrolled: 1-line block ×3, first 2 shown]
                                        ;         Child Loop BB17_227 Depth 4
	s_and_saveexec_b32 s31, s2
	s_cbranch_execz .LBB17_222
; %bb.154:                              ;   in Loop: Header=BB17_153 Depth=2
	v_cmp_lt_i32_e32 vcc_lo, v30, v38
	s_mov_b32 s3, 0
	s_cbranch_vccnz .LBB17_156
; %bb.155:                              ;   in Loop: Header=BB17_153 Depth=2
	v_ashrrev_i32_e32 v31, 31, v30
	s_mov_b32 s4, -1
	s_delay_alu instid0(VALU_DEP_1)
	v_mov_b64_e32 v[36:37], v[30:31]
	v_mov_b32_e32 v34, v30
	s_cbranch_execz .LBB17_157
	s_branch .LBB17_162
.LBB17_156:                             ;   in Loop: Header=BB17_153 Depth=2
	s_mov_b32 s4, 0
                                        ; implicit-def: $vgpr36_vgpr37
	v_mov_b32_e32 v34, v30
.LBB17_157:                             ;   in Loop: Header=BB17_153 Depth=2
	v_dual_mov_b32 v6, v30 :: v_dual_ashrrev_i32 v31, 31, v30
	s_delay_alu instid0(VALU_DEP_1) | instskip(NEXT) | instid1(VALU_DEP_1)
	v_lshlrev_b64_e32 v[26:27], 2, v[30:31]
	v_add_nc_u64_e32 v[32:33], s[40:41], v[26:27]
	v_add_nc_u64_e32 v[28:29], s[48:49], v[26:27]
	s_branch .LBB17_159
.LBB17_158:                             ;   in Loop: Header=BB17_159 Depth=3
	s_delay_alu instid0(VALU_DEP_1) | instskip(SKIP_3) | instid1(VALU_DEP_3)
	v_add_nc_u32_e32 v6, 1, v23
	v_add_nc_u64_e32 v[32:33], 4, v[26:27]
	v_add_nc_u64_e32 v[28:29], 4, v[28:29]
	s_mov_b32 s3, 0
	v_cmp_ge_i32_e64 s4, v6, v38
	s_and_not1_b32 vcc_lo, exec_lo, s4
	s_cbranch_vccz .LBB17_161
.LBB17_159:                             ;   Parent Loop BB17_7 Depth=1
                                        ;     Parent Loop BB17_153 Depth=2
                                        ; =>    This Inner Loop Header: Depth=3
	s_delay_alu instid0(VALU_DEP_2) | instskip(SKIP_4) | instid1(VALU_DEP_1)
	v_mov_b64_e32 v[26:27], v[32:33]
	global_load_b64 v[32:33], v[28:29], off
	global_load_b32 v23, v[26:27], off
	s_wait_loadcnt 0x0
	v_dual_mul_f32 v32, v32, v33 :: v_dual_mul_f32 v23, v23, v23
	v_and_b32_e32 v32, 0x7fffffff, v32
	s_delay_alu instid0(VALU_DEP_2) | instskip(NEXT) | instid1(VALU_DEP_2)
	v_and_b32_e32 v23, 0x7fffffff, v23
	v_mul_f32_e32 v32, s10, v32
	s_delay_alu instid0(VALU_DEP_1)
	v_cmp_le_f32_e32 vcc_lo, v23, v32
	v_mov_b32_e32 v23, v6
	s_cbranch_vccz .LBB17_158
; %bb.160:                              ;   in Loop: Header=BB17_153 Depth=2
	s_mov_b32 s3, -1
                                        ; implicit-def: $vgpr6
                                        ; implicit-def: $vgpr32_vgpr33
                                        ; implicit-def: $vgpr28_vgpr29
.LBB17_161:                             ;   in Loop: Header=BB17_153 Depth=2
	v_mov_b64_e32 v[28:29], v[30:31]
	v_mov_b64_e32 v[36:37], v[30:31]
	v_mov_b32_e32 v34, v38
	s_xor_b32 s4, s3, -1
	s_mov_b32 s3, -1
.LBB17_162:                             ;   in Loop: Header=BB17_153 Depth=2
	s_and_b32 vcc_lo, exec_lo, s4
	s_cbranch_vccnz .LBB17_191
; %bb.163:                              ;   in Loop: Header=BB17_153 Depth=2
	s_and_not1_b32 vcc_lo, exec_lo, s3
	s_cbranch_vccnz .LBB17_165
.LBB17_164:                             ;   in Loop: Header=BB17_153 Depth=2
	v_mov_b64_e32 v[36:37], v[28:29]
	v_mov_b32_e32 v34, v23
	ds_store_2addr_b32 v48, v23, v30 offset0:1 offset1:4
	global_store_b32 v[26:27], v48, off
.LBB17_165:                             ;   in Loop: Header=BB17_153 Depth=2
	v_lshl_add_u64 v[32:33], v[36:37], 2, s[18:19]
	v_add_nc_u32_e32 v6, 1, v30
	s_mov_b32 s3, exec_lo
	global_load_b32 v38, v[32:33], off
	s_wait_loadcnt 0x0
	ds_store_b32 v48, v38 offset:8
	s_wait_xcnt 0x0
	v_cmpx_ne_u32_e64 v34, v30
	s_xor_b32 s33, exec_lo, s3
	s_cbranch_execz .LBB17_219
; %bb.166:                              ;   in Loop: Header=BB17_153 Depth=2
	s_mov_b32 s3, exec_lo
	v_cmpx_ne_u32_e64 v34, v6
	s_xor_b32 s4, exec_lo, s3
	s_cbranch_execz .LBB17_195
; %bb.167:                              ;   in Loop: Header=BB17_153 Depth=2
	v_lshl_add_u64 v[36:37], v[36:37], 2, s[40:41]
	s_mov_b32 s35, exec_lo
	global_load_b32 v6, v[32:33], off offset:4
	global_load_b32 v35, v[36:37], off
	global_load_b32 v31, v34, s[18:19] scale_offset
	v_add_nc_u32_e32 v39, 1, v39
	ds_store_2addr_b32 v48, v48, v39 offset0:2 offset1:7
	s_wait_loadcnt 0x1
	v_dual_sub_f32 v6, v6, v38 :: v_dual_add_f32 v40, v35, v35
	s_delay_alu instid0(VALU_DEP_1) | instskip(SKIP_1) | instid1(VALU_DEP_2)
	v_div_scale_f32 v41, null, v40, v40, v6
	v_div_scale_f32 v44, vcc_lo, v6, v40, v6
	v_rcp_f32_e32 v42, v41
	v_nop
	s_delay_alu instid0(TRANS32_DEP_1) | instskip(NEXT) | instid1(VALU_DEP_1)
	v_fma_f32 v43, -v41, v42, 1.0
	v_fmac_f32_e32 v42, v43, v42
	s_delay_alu instid0(VALU_DEP_1) | instskip(NEXT) | instid1(VALU_DEP_1)
	v_mul_f32_e32 v43, v44, v42
	v_fma_f32 v45, -v41, v43, v44
	s_delay_alu instid0(VALU_DEP_1) | instskip(NEXT) | instid1(VALU_DEP_1)
	v_fmac_f32_e32 v43, v45, v42
	v_fma_f32 v41, -v41, v43, v44
	s_delay_alu instid0(VALU_DEP_1) | instskip(NEXT) | instid1(VALU_DEP_1)
	v_div_fmas_f32 v41, v41, v42, v43
	v_div_fixup_f32 v6, v41, v40, v6
	s_delay_alu instid0(VALU_DEP_1) | instskip(NEXT) | instid1(VALU_DEP_1)
	v_fma_f32 v40, v6, v6, 1.0
	v_mul_f32_e32 v41, 0x4f800000, v40
	v_cmp_gt_f32_e32 vcc_lo, 0xf800000, v40
	s_delay_alu instid0(VALU_DEP_2) | instskip(NEXT) | instid1(VALU_DEP_1)
	v_cndmask_b32_e32 v40, v40, v41, vcc_lo
	v_sqrt_f32_e32 v41, v40
	v_nop
	s_delay_alu instid0(TRANS32_DEP_1) | instskip(NEXT) | instid1(VALU_DEP_1)
	v_dual_add_nc_u32 v42, -1, v41 :: v_dual_add_nc_u32 v43, 1, v41
	v_fma_f32 v44, -v42, v41, v40
	s_delay_alu instid0(VALU_DEP_1) | instskip(NEXT) | instid1(VALU_DEP_1)
	v_cmp_ge_f32_e64 s3, 0, v44
	v_dual_fma_f32 v45, -v43, v41, v40 :: v_dual_cndmask_b32 v41, v41, v42, s3
	s_delay_alu instid0(VALU_DEP_1) | instskip(NEXT) | instid1(VALU_DEP_1)
	v_cmp_lt_f32_e64 s3, 0, v45
	v_cndmask_b32_e64 v41, v41, v43, s3
	s_delay_alu instid0(VALU_DEP_1) | instskip(NEXT) | instid1(VALU_DEP_1)
	v_mul_f32_e32 v42, 0x37800000, v41
	v_cndmask_b32_e32 v41, v41, v42, vcc_lo
	v_cmp_class_f32_e64 vcc_lo, v40, 0x260
	s_delay_alu instid0(VALU_DEP_2) | instskip(SKIP_1) | instid1(VALU_DEP_2)
	v_cndmask_b32_e32 v40, v41, v40, vcc_lo
	v_cmp_nle_f32_e32 vcc_lo, 0, v6
	v_cndmask_b32_e64 v40, |v40|, -|v40|, vcc_lo
	s_delay_alu instid0(VALU_DEP_1) | instskip(NEXT) | instid1(VALU_DEP_1)
	v_add_f32_e32 v6, v6, v40
	v_div_scale_f32 v40, null, v6, v6, v35
	v_div_scale_f32 v43, vcc_lo, v35, v6, v35
	s_delay_alu instid0(VALU_DEP_2) | instskip(SKIP_1) | instid1(TRANS32_DEP_1)
	v_rcp_f32_e32 v41, v40
	v_nop
	v_fma_f32 v42, -v40, v41, 1.0
	s_delay_alu instid0(VALU_DEP_1) | instskip(NEXT) | instid1(VALU_DEP_1)
	v_fmac_f32_e32 v41, v42, v41
	v_mul_f32_e32 v42, v43, v41
	s_delay_alu instid0(VALU_DEP_1) | instskip(NEXT) | instid1(VALU_DEP_1)
	v_fma_f32 v44, -v40, v42, v43
	v_fmac_f32_e32 v42, v44, v41
	s_delay_alu instid0(VALU_DEP_1) | instskip(NEXT) | instid1(VALU_DEP_1)
	v_fma_f32 v40, -v40, v42, v43
	v_div_fmas_f32 v40, v40, v41, v42
	s_wait_loadcnt 0x0
	v_sub_f32_e32 v41, v31, v38
	s_delay_alu instid0(VALU_DEP_2) | instskip(NEXT) | instid1(VALU_DEP_1)
	v_div_fixup_f32 v35, v40, v6, v35
	v_dual_mov_b32 v6, 0 :: v_dual_add_f32 v41, v41, v35
	s_wait_xcnt 0x0
	v_cmpx_gt_i32_e64 v34, v30
	s_cbranch_execz .LBB17_194
; %bb.168:                              ;   in Loop: Header=BB17_153 Depth=2
	v_ashrrev_i32_e32 v35, 31, v34
	s_mov_b32 s70, exec_lo
	s_delay_alu instid0(VALU_DEP_1)
	v_lshl_add_u64 v[38:39], v[34:35], 2, s[40:41]
	global_load_b32 v40, v[38:39], off offset:-4
	s_wait_xcnt 0x0
	v_dual_mov_b32 v38, 0 :: v_dual_mov_b32 v39, 1.0
	s_wait_loadcnt 0x0
	v_cmpx_neq_f32_e32 0, v40
	s_cbranch_execz .LBB17_176
; %bb.169:                              ;   in Loop: Header=BB17_153 Depth=2
	v_dual_mov_b32 v39, 0 :: v_dual_mov_b32 v38, 1.0
	s_mov_b32 s71, exec_lo
	v_cmpx_neq_f32_e32 0, v41
	s_cbranch_execz .LBB17_175
; %bb.170:                              ;   in Loop: Header=BB17_153 Depth=2
	s_mov_b32 s72, exec_lo
                                        ; implicit-def: $vgpr39
	v_cmpx_ngt_f32_e64 |v40|, |v41|
	s_xor_b32 s72, exec_lo, s72
	s_cbranch_execz .LBB17_172
; %bb.171:                              ;   in Loop: Header=BB17_153 Depth=2
	v_div_scale_f32 v6, null, v41, v41, -v40
	v_div_scale_f32 v42, vcc_lo, -v40, v41, -v40
	s_delay_alu instid0(VALU_DEP_2) | instskip(SKIP_1) | instid1(TRANS32_DEP_1)
	v_rcp_f32_e32 v38, v6
	v_nop
	v_fma_f32 v39, -v6, v38, 1.0
	s_delay_alu instid0(VALU_DEP_1) | instskip(NEXT) | instid1(VALU_DEP_1)
	v_fmac_f32_e32 v38, v39, v38
	v_mul_f32_e32 v39, v42, v38
	s_delay_alu instid0(VALU_DEP_1) | instskip(NEXT) | instid1(VALU_DEP_1)
	v_fma_f32 v43, -v6, v39, v42
	v_fmac_f32_e32 v39, v43, v38
	s_delay_alu instid0(VALU_DEP_1) | instskip(NEXT) | instid1(VALU_DEP_1)
	v_fma_f32 v6, -v6, v39, v42
	v_div_fmas_f32 v6, v6, v38, v39
	s_delay_alu instid0(VALU_DEP_1) | instskip(NEXT) | instid1(VALU_DEP_1)
	v_div_fixup_f32 v6, v6, v41, -v40
	v_fma_f32 v38, v6, v6, 1.0
	s_delay_alu instid0(VALU_DEP_1) | instskip(SKIP_1) | instid1(VALU_DEP_2)
	v_mul_f32_e32 v39, 0x4f800000, v38
	v_cmp_gt_f32_e32 vcc_lo, 0xf800000, v38
	v_cndmask_b32_e32 v38, v38, v39, vcc_lo
	s_delay_alu instid0(VALU_DEP_1) | instskip(SKIP_1) | instid1(TRANS32_DEP_1)
	v_sqrt_f32_e32 v39, v38
	v_nop
	v_dual_add_nc_u32 v41, -1, v39 :: v_dual_add_nc_u32 v42, 1, v39
	s_delay_alu instid0(VALU_DEP_1) | instskip(NEXT) | instid1(VALU_DEP_1)
	v_dual_fma_f32 v43, -v41, v39, v38 :: v_dual_fma_f32 v44, -v42, v39, v38
	v_cmp_ge_f32_e64 s3, 0, v43
	s_delay_alu instid0(VALU_DEP_1) | instskip(NEXT) | instid1(VALU_DEP_3)
	v_cndmask_b32_e64 v39, v39, v41, s3
	v_cmp_lt_f32_e64 s3, 0, v44
	s_delay_alu instid0(VALU_DEP_1) | instskip(NEXT) | instid1(VALU_DEP_1)
	v_cndmask_b32_e64 v39, v39, v42, s3
	v_mul_f32_e32 v41, 0x37800000, v39
	s_delay_alu instid0(VALU_DEP_1) | instskip(SKIP_1) | instid1(VALU_DEP_2)
	v_cndmask_b32_e32 v39, v39, v41, vcc_lo
	v_cmp_class_f32_e64 vcc_lo, v38, 0x260
	v_cndmask_b32_e32 v38, v39, v38, vcc_lo
	s_delay_alu instid0(VALU_DEP_1) | instskip(NEXT) | instid1(VALU_DEP_1)
	v_div_scale_f32 v39, null, v38, v38, 1.0
	v_rcp_f32_e32 v41, v39
	v_nop
	s_delay_alu instid0(TRANS32_DEP_1) | instskip(NEXT) | instid1(VALU_DEP_1)
	v_fma_f32 v42, -v39, v41, 1.0
	v_fmac_f32_e32 v41, v42, v41
	v_div_scale_f32 v42, vcc_lo, 1.0, v38, 1.0
	s_delay_alu instid0(VALU_DEP_1) | instskip(NEXT) | instid1(VALU_DEP_1)
	v_mul_f32_e32 v43, v42, v41
	v_fma_f32 v44, -v39, v43, v42
	s_delay_alu instid0(VALU_DEP_1) | instskip(NEXT) | instid1(VALU_DEP_1)
	v_fmac_f32_e32 v43, v44, v41
	v_fma_f32 v39, -v39, v43, v42
	s_delay_alu instid0(VALU_DEP_1) | instskip(NEXT) | instid1(VALU_DEP_1)
	v_div_fmas_f32 v39, v39, v41, v43
                                        ; implicit-def: $vgpr41
	v_div_fixup_f32 v39, v39, v38, 1.0
	s_delay_alu instid0(VALU_DEP_1)
	v_mul_f32_e32 v38, v6, v39
.LBB17_172:                             ;   in Loop: Header=BB17_153 Depth=2
	s_and_not1_saveexec_b32 s72, s72
	s_cbranch_execz .LBB17_174
; %bb.173:                              ;   in Loop: Header=BB17_153 Depth=2
	v_div_scale_f32 v6, null, v40, v40, -v41
	v_div_scale_f32 v42, vcc_lo, -v41, v40, -v41
	s_delay_alu instid0(VALU_DEP_2) | instskip(SKIP_1) | instid1(TRANS32_DEP_1)
	v_rcp_f32_e32 v38, v6
	v_nop
	v_fma_f32 v39, -v6, v38, 1.0
	s_delay_alu instid0(VALU_DEP_1) | instskip(NEXT) | instid1(VALU_DEP_1)
	v_fmac_f32_e32 v38, v39, v38
	v_mul_f32_e32 v39, v42, v38
	s_delay_alu instid0(VALU_DEP_1) | instskip(NEXT) | instid1(VALU_DEP_1)
	v_fma_f32 v43, -v6, v39, v42
	v_fmac_f32_e32 v39, v43, v38
	s_delay_alu instid0(VALU_DEP_1) | instskip(NEXT) | instid1(VALU_DEP_1)
	v_fma_f32 v6, -v6, v39, v42
	v_div_fmas_f32 v6, v6, v38, v39
	s_delay_alu instid0(VALU_DEP_1) | instskip(NEXT) | instid1(VALU_DEP_1)
	v_div_fixup_f32 v6, v6, v40, -v41
	v_fma_f32 v38, v6, v6, 1.0
	s_delay_alu instid0(VALU_DEP_1) | instskip(SKIP_1) | instid1(VALU_DEP_2)
	v_mul_f32_e32 v39, 0x4f800000, v38
	v_cmp_gt_f32_e32 vcc_lo, 0xf800000, v38
	v_cndmask_b32_e32 v38, v38, v39, vcc_lo
	s_delay_alu instid0(VALU_DEP_1) | instskip(SKIP_1) | instid1(TRANS32_DEP_1)
	v_sqrt_f32_e32 v39, v38
	v_nop
	v_dual_add_nc_u32 v41, -1, v39 :: v_dual_add_nc_u32 v42, 1, v39
	s_delay_alu instid0(VALU_DEP_1) | instskip(NEXT) | instid1(VALU_DEP_1)
	v_dual_fma_f32 v43, -v41, v39, v38 :: v_dual_fma_f32 v44, -v42, v39, v38
	v_cmp_ge_f32_e64 s3, 0, v43
	s_delay_alu instid0(VALU_DEP_1) | instskip(NEXT) | instid1(VALU_DEP_3)
	v_cndmask_b32_e64 v39, v39, v41, s3
	v_cmp_lt_f32_e64 s3, 0, v44
	s_delay_alu instid0(VALU_DEP_1) | instskip(NEXT) | instid1(VALU_DEP_1)
	v_cndmask_b32_e64 v39, v39, v42, s3
	v_mul_f32_e32 v41, 0x37800000, v39
	s_delay_alu instid0(VALU_DEP_1) | instskip(SKIP_1) | instid1(VALU_DEP_2)
	v_cndmask_b32_e32 v39, v39, v41, vcc_lo
	v_cmp_class_f32_e64 vcc_lo, v38, 0x260
	v_cndmask_b32_e32 v38, v39, v38, vcc_lo
	s_delay_alu instid0(VALU_DEP_1) | instskip(NEXT) | instid1(VALU_DEP_1)
	v_div_scale_f32 v39, null, v38, v38, 1.0
	v_rcp_f32_e32 v41, v39
	v_nop
	s_delay_alu instid0(TRANS32_DEP_1) | instskip(NEXT) | instid1(VALU_DEP_1)
	v_fma_f32 v42, -v39, v41, 1.0
	v_fmac_f32_e32 v41, v42, v41
	v_div_scale_f32 v42, vcc_lo, 1.0, v38, 1.0
	s_delay_alu instid0(VALU_DEP_1) | instskip(NEXT) | instid1(VALU_DEP_1)
	v_mul_f32_e32 v43, v42, v41
	v_fma_f32 v44, -v39, v43, v42
	s_delay_alu instid0(VALU_DEP_1) | instskip(NEXT) | instid1(VALU_DEP_1)
	v_fmac_f32_e32 v43, v44, v41
	v_fma_f32 v39, -v39, v43, v42
	s_delay_alu instid0(VALU_DEP_1) | instskip(NEXT) | instid1(VALU_DEP_1)
	v_div_fmas_f32 v39, v39, v41, v43
	v_div_fixup_f32 v38, v39, v38, 1.0
	s_delay_alu instid0(VALU_DEP_1)
	v_mul_f32_e32 v39, v6, v38
.LBB17_174:                             ;   in Loop: Header=BB17_153 Depth=2
	s_or_b32 exec_lo, exec_lo, s72
.LBB17_175:                             ;   in Loop: Header=BB17_153 Depth=2
	s_delay_alu instid0(SALU_CYCLE_1)
	s_or_b32 exec_lo, exec_lo, s71
.LBB17_176:                             ;   in Loop: Header=BB17_153 Depth=2
	s_delay_alu instid0(SALU_CYCLE_1)
	s_or_b32 exec_lo, exec_lo, s70
	v_lshl_add_u64 v[44:45], v[34:35], 2, s[18:19]
	v_lshl_add_u64 v[46:47], v[34:35], 2, s[44:45]
	s_mov_b32 s78, exec_lo
	global_load_b32 v6, v[44:45], off offset:-4
	v_add_nc_u64_e32 v[52:53], -4, v[46:47]
	s_delay_alu instid0(VALU_DEP_1) | instskip(SKIP_2) | instid1(VALU_DEP_1)
	v_lshl_add_u64 v[52:53], s[6:7], 2, v[52:53]
	s_wait_loadcnt 0x0
	v_sub_f32_e32 v6, v6, v31
	v_pk_mul_f32 v[42:43], v[38:39], v[6:7]
	s_delay_alu instid0(VALU_DEP_1) | instskip(NEXT) | instid1(VALU_DEP_1)
	v_dual_fma_f32 v35, v40, v43, -v42 :: v_dual_add_nc_u32 v42, -1, v34
	v_dual_mul_f32 v6, v35, -v38 :: v_dual_fma_f32 v31, v35, -v38, v31
	v_fma_f32 v41, v39, v35, -v40
	ds_store_b32 v48, v6 offset:8
	global_store_b32 v[44:45], v31, off
	s_clause 0x1
	global_store_b32 v[46:47], v39, off offset:-4
	global_store_b32 v[52:53], v38, off offset:-4
	s_wait_xcnt 0x0
	v_cmpx_gt_i32_e64 v42, v30
	s_cbranch_execz .LBB17_193
; %bb.177:                              ;   in Loop: Header=BB17_153 Depth=2
	v_ashrrev_i32_e32 v43, 31, v42
	v_xor_b32_e32 v35, 0x80000000, v38
	s_mov_b32 s80, -1
	s_mov_b32 s79, 0
	s_mov_b64 s[70:71], s[58:59]
	v_lshlrev_b64_e32 v[42:43], 2, v[42:43]
	s_mov_b64 s[72:73], s[18:19]
	s_mov_b64 s[74:75], s[56:57]
	;; [unrolled: 1-line block ×3, first 2 shown]
	s_branch .LBB17_179
.LBB17_178:                             ;   in Loop: Header=BB17_179 Depth=3
	s_wait_xcnt 0x0
	v_add_nc_u64_e32 v[44:45], s[72:73], v[42:43]
	s_add_co_i32 s80, s80, -1
	v_add_nc_u64_e32 v[52:53], s[74:75], v[42:43]
	v_xor_b32_e32 v35, 0x80000000, v46
	v_add_nc_u64_e32 v[54:55], s[76:77], v[42:43]
	s_add_nc_u64 s[76:77], s[76:77], -4
	s_add_nc_u64 s[74:75], s[74:75], -4
	global_load_b64 v[40:41], v[44:45], off offset:-4
	s_add_nc_u64 s[72:73], s[72:73], -4
	s_add_nc_u64 s[70:71], s[70:71], -4
	s_wait_loadcnt 0x0
	v_dual_mul_f32 v31, v39, v31 :: v_dual_sub_f32 v41, v41, v6
	s_delay_alu instid0(VALU_DEP_1) | instskip(NEXT) | instid1(VALU_DEP_1)
	v_sub_f32_e32 v6, v40, v41
	v_pk_mul_f32 v[38:39], v[46:47], v[6:7]
	s_delay_alu instid0(VALU_DEP_1) | instskip(SKIP_1) | instid1(VALU_DEP_2)
	v_dual_add_nc_u32 v6, s80, v34 :: v_dual_fma_f32 v38, v31, v39, -v38
	v_mov_b32_e32 v39, v47
	v_cmp_le_i32_e32 vcc_lo, v6, v30
	s_delay_alu instid0(VALU_DEP_3)
	v_dual_fma_f32 v40, v38, -v46, v41 :: v_dual_mul_f32 v6, v38, -v46
	v_fma_f32 v41, v47, v38, -v31
	s_or_b32 s79, vcc_lo, s79
	global_store_b32 v[44:45], v40, off
	global_store_b32 v[52:53], v47, off
	;; [unrolled: 1-line block ×3, first 2 shown]
	s_wait_xcnt 0x0
	s_and_not1_b32 exec_lo, exec_lo, s79
	s_cbranch_execz .LBB17_192
.LBB17_179:                             ;   Parent Loop BB17_7 Depth=1
                                        ;     Parent Loop BB17_153 Depth=2
                                        ; =>    This Inner Loop Header: Depth=3
	s_delay_alu instid0(VALU_DEP_1)
	v_add_nc_u64_e32 v[44:45], s[70:71], v[42:43]
	v_mov_b32_e32 v47, 1.0
	s_mov_b32 s81, exec_lo
	v_mov_b32_e32 v46, 0
	global_load_b32 v31, v[44:45], off
	s_wait_loadcnt 0x0
	v_mul_f32_e32 v40, v35, v31
	s_wait_xcnt 0x0
	s_delay_alu instid0(VALU_DEP_1)
	v_cmpx_neq_f32_e32 0, v40
	s_cbranch_execz .LBB17_189
; %bb.180:                              ;   in Loop: Header=BB17_179 Depth=3
	v_xor_b32_e32 v35, 0x80000000, v40
                                        ; implicit-def: $vgpr47
	s_mov_b32 s3, exec_lo
	v_cmpx_neq_f32_e32 0, v41
	s_xor_b32 s82, exec_lo, s3
	s_cbranch_execz .LBB17_186
; %bb.181:                              ;   in Loop: Header=BB17_179 Depth=3
	s_mov_b32 s83, exec_lo
                                        ; implicit-def: $vgpr47
	v_cmpx_ngt_f32_e64 |v40|, |v41|
	s_xor_b32 s83, exec_lo, s83
	s_cbranch_execz .LBB17_183
; %bb.182:                              ;   in Loop: Header=BB17_179 Depth=3
	v_div_scale_f32 v35, null, v41, v41, -v40
	v_div_scale_f32 v47, vcc_lo, -v40, v41, -v40
	s_delay_alu instid0(VALU_DEP_2) | instskip(SKIP_1) | instid1(TRANS32_DEP_1)
	v_rcp_f32_e32 v38, v35
	v_nop
	v_fma_f32 v46, -v35, v38, 1.0
	s_delay_alu instid0(VALU_DEP_1) | instskip(NEXT) | instid1(VALU_DEP_1)
	v_fmac_f32_e32 v38, v46, v38
	v_mul_f32_e32 v46, v47, v38
	s_delay_alu instid0(VALU_DEP_1) | instskip(NEXT) | instid1(VALU_DEP_1)
	v_fma_f32 v51, -v35, v46, v47
	v_fmac_f32_e32 v46, v51, v38
	s_delay_alu instid0(VALU_DEP_1) | instskip(NEXT) | instid1(VALU_DEP_1)
	v_fma_f32 v35, -v35, v46, v47
	v_div_fmas_f32 v35, v35, v38, v46
	s_delay_alu instid0(VALU_DEP_1) | instskip(NEXT) | instid1(VALU_DEP_1)
	v_div_fixup_f32 v35, v35, v41, -v40
	v_fma_f32 v38, v35, v35, 1.0
	s_delay_alu instid0(VALU_DEP_1) | instskip(SKIP_1) | instid1(VALU_DEP_2)
	v_mul_f32_e32 v46, 0x4f800000, v38
	v_cmp_gt_f32_e32 vcc_lo, 0xf800000, v38
	v_cndmask_b32_e32 v38, v38, v46, vcc_lo
	s_delay_alu instid0(VALU_DEP_1) | instskip(SKIP_1) | instid1(TRANS32_DEP_1)
	v_sqrt_f32_e32 v46, v38
	v_nop
	v_dual_add_nc_u32 v47, -1, v46 :: v_dual_add_nc_u32 v51, 1, v46
	s_delay_alu instid0(VALU_DEP_1) | instskip(NEXT) | instid1(VALU_DEP_2)
	v_fma_f32 v52, -v47, v46, v38
	v_fma_f32 v53, -v51, v46, v38
	s_delay_alu instid0(VALU_DEP_2) | instskip(NEXT) | instid1(VALU_DEP_1)
	v_cmp_ge_f32_e64 s3, 0, v52
	v_cndmask_b32_e64 v46, v46, v47, s3
	s_delay_alu instid0(VALU_DEP_3) | instskip(NEXT) | instid1(VALU_DEP_1)
	v_cmp_lt_f32_e64 s3, 0, v53
	v_cndmask_b32_e64 v46, v46, v51, s3
	s_delay_alu instid0(VALU_DEP_1) | instskip(NEXT) | instid1(VALU_DEP_1)
	v_mul_f32_e32 v47, 0x37800000, v46
	v_cndmask_b32_e32 v46, v46, v47, vcc_lo
	v_cmp_class_f32_e64 vcc_lo, v38, 0x260
	s_delay_alu instid0(VALU_DEP_2) | instskip(NEXT) | instid1(VALU_DEP_1)
	v_cndmask_b32_e32 v38, v46, v38, vcc_lo
	v_div_scale_f32 v46, null, v38, v38, 1.0
	s_delay_alu instid0(VALU_DEP_1) | instskip(SKIP_1) | instid1(TRANS32_DEP_1)
	v_rcp_f32_e32 v47, v46
	v_nop
	v_fma_f32 v51, -v46, v47, 1.0
	s_delay_alu instid0(VALU_DEP_1) | instskip(SKIP_1) | instid1(VALU_DEP_1)
	v_fmac_f32_e32 v47, v51, v47
	v_div_scale_f32 v51, vcc_lo, 1.0, v38, 1.0
	v_mul_f32_e32 v52, v51, v47
	s_delay_alu instid0(VALU_DEP_1) | instskip(NEXT) | instid1(VALU_DEP_1)
	v_fma_f32 v53, -v46, v52, v51
	v_fmac_f32_e32 v52, v53, v47
	s_delay_alu instid0(VALU_DEP_1) | instskip(NEXT) | instid1(VALU_DEP_1)
	v_fma_f32 v46, -v46, v52, v51
	v_div_fmas_f32 v46, v46, v47, v52
	s_delay_alu instid0(VALU_DEP_1) | instskip(NEXT) | instid1(VALU_DEP_1)
	v_div_fixup_f32 v47, v46, v38, 1.0
	v_mul_f32_e32 v46, v35, v47
.LBB17_183:                             ;   in Loop: Header=BB17_179 Depth=3
	s_and_not1_saveexec_b32 s83, s83
	s_cbranch_execz .LBB17_185
; %bb.184:                              ;   in Loop: Header=BB17_179 Depth=3
	v_div_scale_f32 v35, null, v40, v40, -v41
	v_div_scale_f32 v47, vcc_lo, -v41, v40, -v41
	s_delay_alu instid0(VALU_DEP_2) | instskip(SKIP_1) | instid1(TRANS32_DEP_1)
	v_rcp_f32_e32 v38, v35
	v_nop
	v_fma_f32 v46, -v35, v38, 1.0
	s_delay_alu instid0(VALU_DEP_1) | instskip(NEXT) | instid1(VALU_DEP_1)
	v_fmac_f32_e32 v38, v46, v38
	v_mul_f32_e32 v46, v47, v38
	s_delay_alu instid0(VALU_DEP_1) | instskip(NEXT) | instid1(VALU_DEP_1)
	v_fma_f32 v51, -v35, v46, v47
	v_fmac_f32_e32 v46, v51, v38
	s_delay_alu instid0(VALU_DEP_1) | instskip(NEXT) | instid1(VALU_DEP_1)
	v_fma_f32 v35, -v35, v46, v47
	v_div_fmas_f32 v35, v35, v38, v46
	s_delay_alu instid0(VALU_DEP_1) | instskip(NEXT) | instid1(VALU_DEP_1)
	v_div_fixup_f32 v35, v35, v40, -v41
	v_fma_f32 v38, v35, v35, 1.0
	s_delay_alu instid0(VALU_DEP_1) | instskip(SKIP_1) | instid1(VALU_DEP_2)
	v_mul_f32_e32 v46, 0x4f800000, v38
	v_cmp_gt_f32_e32 vcc_lo, 0xf800000, v38
	v_cndmask_b32_e32 v38, v38, v46, vcc_lo
	s_delay_alu instid0(VALU_DEP_1) | instskip(SKIP_1) | instid1(TRANS32_DEP_1)
	v_sqrt_f32_e32 v46, v38
	v_nop
	v_dual_add_nc_u32 v47, -1, v46 :: v_dual_add_nc_u32 v51, 1, v46
	s_delay_alu instid0(VALU_DEP_1) | instskip(NEXT) | instid1(VALU_DEP_2)
	v_fma_f32 v52, -v47, v46, v38
	v_fma_f32 v53, -v51, v46, v38
	s_delay_alu instid0(VALU_DEP_2) | instskip(NEXT) | instid1(VALU_DEP_1)
	v_cmp_ge_f32_e64 s3, 0, v52
	v_cndmask_b32_e64 v46, v46, v47, s3
	s_delay_alu instid0(VALU_DEP_3) | instskip(NEXT) | instid1(VALU_DEP_1)
	v_cmp_lt_f32_e64 s3, 0, v53
	v_cndmask_b32_e64 v46, v46, v51, s3
	s_delay_alu instid0(VALU_DEP_1) | instskip(NEXT) | instid1(VALU_DEP_1)
	v_mul_f32_e32 v47, 0x37800000, v46
	v_cndmask_b32_e32 v46, v46, v47, vcc_lo
	v_cmp_class_f32_e64 vcc_lo, v38, 0x260
	s_delay_alu instid0(VALU_DEP_2) | instskip(NEXT) | instid1(VALU_DEP_1)
	v_cndmask_b32_e32 v38, v46, v38, vcc_lo
	v_div_scale_f32 v46, null, v38, v38, 1.0
	s_delay_alu instid0(VALU_DEP_1) | instskip(SKIP_1) | instid1(TRANS32_DEP_1)
	v_rcp_f32_e32 v47, v46
	v_nop
	v_fma_f32 v51, -v46, v47, 1.0
	s_delay_alu instid0(VALU_DEP_1) | instskip(SKIP_1) | instid1(VALU_DEP_1)
	v_fmac_f32_e32 v47, v51, v47
	v_div_scale_f32 v51, vcc_lo, 1.0, v38, 1.0
	v_mul_f32_e32 v52, v51, v47
	s_delay_alu instid0(VALU_DEP_1) | instskip(NEXT) | instid1(VALU_DEP_1)
	v_fma_f32 v53, -v46, v52, v51
	v_fmac_f32_e32 v52, v53, v47
	s_delay_alu instid0(VALU_DEP_1) | instskip(NEXT) | instid1(VALU_DEP_1)
	v_fma_f32 v46, -v46, v52, v51
	v_div_fmas_f32 v46, v46, v47, v52
	s_delay_alu instid0(VALU_DEP_1) | instskip(NEXT) | instid1(VALU_DEP_1)
	v_div_fixup_f32 v46, v46, v38, 1.0
	v_mul_f32_e32 v47, v35, v46
.LBB17_185:                             ;   in Loop: Header=BB17_179 Depth=3
	s_or_b32 exec_lo, exec_lo, s83
	s_delay_alu instid0(VALU_DEP_1) | instskip(NEXT) | instid1(VALU_DEP_1)
	v_pk_mul_f32 v[40:41], v[40:41], v[46:47]
	v_sub_f32_e32 v35, v41, v40
.LBB17_186:                             ;   in Loop: Header=BB17_179 Depth=3
	s_and_not1_saveexec_b32 s3, s82
; %bb.187:                              ;   in Loop: Header=BB17_179 Depth=3
	v_dual_mov_b32 v46, 1.0 :: v_dual_mov_b32 v47, 0
; %bb.188:                              ;   in Loop: Header=BB17_179 Depth=3
	s_or_b32 exec_lo, exec_lo, s3
	s_delay_alu instid0(VALU_DEP_2)
	v_mov_b32_e32 v41, v35
.LBB17_189:                             ;   in Loop: Header=BB17_179 Depth=3
	s_or_b32 exec_lo, exec_lo, s81
	s_cmp_eq_u32 s80, 0
	s_cbranch_scc1 .LBB17_178
; %bb.190:                              ;   in Loop: Header=BB17_179 Depth=3
	global_store_b32 v[44:45], v41, off offset:4
	s_branch .LBB17_178
.LBB17_191:                             ;   in Loop: Header=BB17_153 Depth=2
	ds_store_2addr_b32 v48, v34, v30 offset0:1 offset1:4
	s_cbranch_execz .LBB17_164
	s_branch .LBB17_165
.LBB17_192:                             ;   in Loop: Header=BB17_153 Depth=2
	s_or_b32 exec_lo, exec_lo, s79
	ds_store_b32 v48, v6 offset:8
.LBB17_193:                             ;   in Loop: Header=BB17_153 Depth=2
	s_or_b32 exec_lo, exec_lo, s78
	global_load_b32 v38, v[32:33], off
.LBB17_194:                             ;   in Loop: Header=BB17_153 Depth=2
	s_wait_xcnt 0x0
	s_or_b32 exec_lo, exec_lo, s35
	s_wait_loadcnt 0x0
	v_sub_f32_e32 v6, v38, v6
                                        ; implicit-def: $vgpr30
                                        ; implicit-def: $vgpr38
	global_store_b32 v[32:33], v6, off
	global_store_b32 v[36:37], v41, off
                                        ; implicit-def: $vgpr36_vgpr37
                                        ; implicit-def: $vgpr32_vgpr33
.LBB17_195:                             ;   in Loop: Header=BB17_153 Depth=2
	s_wait_xcnt 0x0
	s_and_not1_saveexec_b32 s35, s4
	s_cbranch_execz .LBB17_228
; %bb.196:                              ;   in Loop: Header=BB17_153 Depth=2
	v_lshl_add_u64 v[34:35], v[36:37], 2, s[40:41]
	s_mov_b32 s4, exec_lo
                                        ; implicit-def: $vgpr6
	global_load_b32 v41, v[34:35], off
	global_load_b32 v39, v[32:33], off offset:4
	s_wait_loadcnt 0x0
	v_dual_add_f32 v31, v41, v41 :: v_dual_sub_f32 v40, v38, v39
	s_delay_alu instid0(VALU_DEP_1) | instskip(SKIP_1) | instid1(VALU_DEP_2)
	v_and_b32_e32 v42, 0x7fffffff, v31
	s_wait_xcnt 0x0
	v_cmpx_ngt_f32_e64 |v40|, |v31|
	s_xor_b32 s4, exec_lo, s4
	s_cbranch_execz .LBB17_202
; %bb.197:                              ;   in Loop: Header=BB17_153 Depth=2
	v_cmp_nlt_f32_e64 s3, |v40|, |v31|
                                        ; implicit-def: $vgpr6
	s_and_saveexec_b32 s70, s3
	s_delay_alu instid0(SALU_CYCLE_1)
	s_xor_b32 s3, exec_lo, s70
	s_cbranch_execz .LBB17_199
; %bb.198:                              ;   in Loop: Header=BB17_153 Depth=2
	v_cvt_f64_f32_e32 v[42:43], v42
	s_delay_alu instid0(VALU_DEP_1) | instskip(NEXT) | instid1(VALU_DEP_1)
	v_mul_f64_e32 v[42:43], 0x3ff6a09e667f3bcd, v[42:43]
	v_cvt_f32_f64_e32 v6, v[42:43]
                                        ; implicit-def: $vgpr42
.LBB17_199:                             ;   in Loop: Header=BB17_153 Depth=2
	s_and_not1_saveexec_b32 s70, s3
	s_cbranch_execz .LBB17_201
; %bb.200:                              ;   in Loop: Header=BB17_153 Depth=2
	v_and_b32_e32 v6, 0x7fffffff, v40
	s_delay_alu instid0(VALU_DEP_1) | instskip(SKIP_1) | instid1(VALU_DEP_2)
	v_div_scale_f32 v43, null, v42, v42, v6
	v_div_scale_f32 v6, vcc_lo, v6, v42, v6
	v_rcp_f32_e32 v44, v43
	v_nop
	s_delay_alu instid0(TRANS32_DEP_1) | instskip(NEXT) | instid1(VALU_DEP_1)
	v_fma_f32 v45, -v43, v44, 1.0
	v_fmac_f32_e32 v44, v45, v44
	s_delay_alu instid0(VALU_DEP_1) | instskip(NEXT) | instid1(VALU_DEP_1)
	v_mul_f32_e32 v42, v6, v44
	v_fma_f32 v45, -v43, v42, v6
	s_delay_alu instid0(VALU_DEP_1) | instskip(NEXT) | instid1(VALU_DEP_1)
	v_fmac_f32_e32 v42, v45, v44
	v_fma_f32 v6, -v43, v42, v6
	s_delay_alu instid0(VALU_DEP_1) | instskip(NEXT) | instid1(VALU_DEP_1)
	v_div_fmas_f32 v6, v6, v44, v42
	v_div_fixup_f32 v6, v6, |v31|, |v40|
	s_delay_alu instid0(VALU_DEP_1) | instskip(NEXT) | instid1(VALU_DEP_1)
	v_fma_f32 v6, v6, v6, 1.0
	v_mul_f32_e32 v42, 0x4f800000, v6
	v_cmp_gt_f32_e32 vcc_lo, 0xf800000, v6
	s_delay_alu instid0(VALU_DEP_2) | instskip(NEXT) | instid1(VALU_DEP_1)
	v_cndmask_b32_e32 v6, v6, v42, vcc_lo
	v_sqrt_f32_e32 v42, v6
	v_nop
	s_delay_alu instid0(TRANS32_DEP_1) | instskip(NEXT) | instid1(VALU_DEP_1)
	v_dual_add_nc_u32 v43, -1, v42 :: v_dual_add_nc_u32 v44, 1, v42
	v_dual_fma_f32 v45, -v43, v42, v6 :: v_dual_fma_f32 v46, -v44, v42, v6
	s_delay_alu instid0(VALU_DEP_1) | instskip(NEXT) | instid1(VALU_DEP_1)
	v_cmp_ge_f32_e64 s3, 0, v45
	v_cndmask_b32_e64 v42, v42, v43, s3
	s_delay_alu instid0(VALU_DEP_3) | instskip(NEXT) | instid1(VALU_DEP_1)
	v_cmp_lt_f32_e64 s3, 0, v46
	v_cndmask_b32_e64 v42, v42, v44, s3
	s_delay_alu instid0(VALU_DEP_1) | instskip(NEXT) | instid1(VALU_DEP_1)
	v_mul_f32_e32 v43, 0x37800000, v42
	v_cndmask_b32_e32 v42, v42, v43, vcc_lo
	v_cmp_class_f32_e64 vcc_lo, v6, 0x260
	s_delay_alu instid0(VALU_DEP_2) | instskip(NEXT) | instid1(VALU_DEP_1)
	v_cndmask_b32_e32 v6, v42, v6, vcc_lo
	v_mul_f32_e64 v6, |v31|, v6
.LBB17_201:                             ;   in Loop: Header=BB17_153 Depth=2
	s_or_b32 exec_lo, exec_lo, s70
                                        ; implicit-def: $vgpr42
.LBB17_202:                             ;   in Loop: Header=BB17_153 Depth=2
	s_and_not1_saveexec_b32 s4, s4
	s_cbranch_execz .LBB17_204
; %bb.203:                              ;   in Loop: Header=BB17_153 Depth=2
	v_and_b32_e32 v6, 0x7fffffff, v40
	s_delay_alu instid0(VALU_DEP_1) | instskip(SKIP_1) | instid1(VALU_DEP_2)
	v_div_scale_f32 v43, null, v6, v6, v42
	v_div_scale_f32 v6, vcc_lo, v42, v6, v42
	v_rcp_f32_e32 v44, v43
	v_nop
	s_delay_alu instid0(TRANS32_DEP_1) | instskip(NEXT) | instid1(VALU_DEP_1)
	v_fma_f32 v45, -v43, v44, 1.0
	v_fmac_f32_e32 v44, v45, v44
	s_delay_alu instid0(VALU_DEP_1) | instskip(NEXT) | instid1(VALU_DEP_1)
	v_mul_f32_e32 v42, v6, v44
	v_fma_f32 v45, -v43, v42, v6
	s_delay_alu instid0(VALU_DEP_1) | instskip(NEXT) | instid1(VALU_DEP_1)
	v_fmac_f32_e32 v42, v45, v44
	v_fma_f32 v6, -v43, v42, v6
	s_delay_alu instid0(VALU_DEP_1) | instskip(NEXT) | instid1(VALU_DEP_1)
	v_div_fmas_f32 v6, v6, v44, v42
	v_div_fixup_f32 v6, v6, |v40|, |v31|
	s_delay_alu instid0(VALU_DEP_1) | instskip(NEXT) | instid1(VALU_DEP_1)
	v_fma_f32 v6, v6, v6, 1.0
	v_mul_f32_e32 v42, 0x4f800000, v6
	v_cmp_gt_f32_e32 vcc_lo, 0xf800000, v6
	s_delay_alu instid0(VALU_DEP_2) | instskip(NEXT) | instid1(VALU_DEP_1)
	v_cndmask_b32_e32 v6, v6, v42, vcc_lo
	v_sqrt_f32_e32 v42, v6
	v_nop
	s_delay_alu instid0(TRANS32_DEP_1) | instskip(NEXT) | instid1(VALU_DEP_1)
	v_dual_add_nc_u32 v43, -1, v42 :: v_dual_add_nc_u32 v44, 1, v42
	v_dual_fma_f32 v45, -v43, v42, v6 :: v_dual_fma_f32 v46, -v44, v42, v6
	s_delay_alu instid0(VALU_DEP_1) | instskip(NEXT) | instid1(VALU_DEP_1)
	v_cmp_ge_f32_e64 s3, 0, v45
	v_cndmask_b32_e64 v42, v42, v43, s3
	s_delay_alu instid0(VALU_DEP_3) | instskip(NEXT) | instid1(VALU_DEP_1)
	v_cmp_lt_f32_e64 s3, 0, v46
	v_cndmask_b32_e64 v42, v42, v44, s3
	s_delay_alu instid0(VALU_DEP_1) | instskip(NEXT) | instid1(VALU_DEP_1)
	v_mul_f32_e32 v43, 0x37800000, v42
	v_cndmask_b32_e32 v42, v42, v43, vcc_lo
	v_cmp_class_f32_e64 vcc_lo, v6, 0x260
	s_delay_alu instid0(VALU_DEP_2) | instskip(NEXT) | instid1(VALU_DEP_1)
	v_cndmask_b32_e32 v6, v42, v6, vcc_lo
	v_mul_f32_e64 v6, |v40|, v6
.LBB17_204:                             ;   in Loop: Header=BB17_153 Depth=2
	s_or_b32 exec_lo, exec_lo, s4
	v_cmp_gt_f32_e64 vcc_lo, |v38|, |v39|
	v_add_f32_e32 v44, v38, v39
	s_mov_b32 s3, exec_lo
	v_dual_cndmask_b32 v43, v38, v39, vcc_lo :: v_dual_cndmask_b32 v45, v39, v38, vcc_lo
                                        ; implicit-def: $vgpr38_vgpr39
	s_delay_alu instid0(VALU_DEP_2)
	v_cmpx_ngt_f32_e32 0, v44
	s_xor_b32 s3, exec_lo, s3
	s_cbranch_execz .LBB17_210
; %bb.205:                              ;   in Loop: Header=BB17_153 Depth=2
	s_mov_b32 s4, exec_lo
                                        ; implicit-def: $vgpr38_vgpr39
	v_cmpx_nlt_f32_e32 0, v44
	s_xor_b32 s4, exec_lo, s4
; %bb.206:                              ;   in Loop: Header=BB17_153 Depth=2
	v_pk_mul_f32 v[38:39], v[6:7], v[4:5] op_sel_hi:[0,1]
                                        ; implicit-def: $vgpr44
                                        ; implicit-def: $vgpr45
                                        ; implicit-def: $vgpr43
                                        ; implicit-def: $vgpr41
; %bb.207:                              ;   in Loop: Header=BB17_153 Depth=2
	s_and_not1_saveexec_b32 s4, s4
	s_cbranch_execz .LBB17_209
; %bb.208:                              ;   in Loop: Header=BB17_153 Depth=2
	v_add_f32_e32 v38, v44, v6
	v_cvt_f64_f32_e32 v[44:45], v45
	v_cvt_f64_f32_e32 v[42:43], v43
	s_delay_alu instid0(VALU_DEP_3) | instskip(NEXT) | instid1(VALU_DEP_1)
	v_mul_f32_e32 v38, 0.5, v38
	v_cvt_f64_f32_e32 v[46:47], v38
	s_delay_alu instid0(VALU_DEP_1) | instskip(NEXT) | instid1(VALU_DEP_1)
	v_div_scale_f64 v[52:53], null, v[46:47], v[46:47], v[44:45]
	v_rcp_f64_e32 v[54:55], v[52:53]
	v_nop
	s_delay_alu instid0(TRANS32_DEP_1) | instskip(NEXT) | instid1(VALU_DEP_1)
	v_fma_f64 v[56:57], -v[52:53], v[54:55], 1.0
	v_fmac_f64_e32 v[54:55], v[54:55], v[56:57]
	s_delay_alu instid0(VALU_DEP_1) | instskip(NEXT) | instid1(VALU_DEP_1)
	v_fma_f64 v[56:57], -v[52:53], v[54:55], 1.0
	v_fmac_f64_e32 v[54:55], v[54:55], v[56:57]
	v_div_scale_f64 v[56:57], vcc_lo, v[44:45], v[46:47], v[44:45]
	s_delay_alu instid0(VALU_DEP_1) | instskip(NEXT) | instid1(VALU_DEP_1)
	v_mul_f64_e32 v[58:59], v[56:57], v[54:55]
	v_fma_f64 v[52:53], -v[52:53], v[58:59], v[56:57]
	s_delay_alu instid0(VALU_DEP_1) | instskip(NEXT) | instid1(VALU_DEP_1)
	v_div_fmas_f64 v[52:53], v[52:53], v[54:55], v[58:59]
	v_div_fixup_f64 v[44:45], v[52:53], v[46:47], v[44:45]
	v_cvt_f64_f32_e32 v[52:53], v41
	s_delay_alu instid0(VALU_DEP_1) | instskip(NEXT) | instid1(VALU_DEP_1)
	v_div_scale_f64 v[54:55], null, v[46:47], v[46:47], v[52:53]
	v_rcp_f64_e32 v[56:57], v[54:55]
	v_nop
	s_delay_alu instid0(TRANS32_DEP_1) | instskip(NEXT) | instid1(VALU_DEP_1)
	v_fma_f64 v[58:59], -v[54:55], v[56:57], 1.0
	v_fmac_f64_e32 v[56:57], v[56:57], v[58:59]
	s_delay_alu instid0(VALU_DEP_1) | instskip(NEXT) | instid1(VALU_DEP_1)
	v_fma_f64 v[58:59], -v[54:55], v[56:57], 1.0
	v_fmac_f64_e32 v[56:57], v[56:57], v[58:59]
	v_div_scale_f64 v[58:59], vcc_lo, v[52:53], v[46:47], v[52:53]
	s_delay_alu instid0(VALU_DEP_1) | instskip(NEXT) | instid1(VALU_DEP_1)
	v_mul_f64_e32 v[60:61], v[58:59], v[56:57]
	v_fma_f64 v[54:55], -v[54:55], v[60:61], v[58:59]
	s_delay_alu instid0(VALU_DEP_1) | instskip(NEXT) | instid1(VALU_DEP_1)
	v_div_fmas_f64 v[54:55], v[54:55], v[56:57], v[60:61]
	v_div_fixup_f64 v[46:47], v[54:55], v[46:47], v[52:53]
	s_delay_alu instid0(VALU_DEP_1) | instskip(NEXT) | instid1(VALU_DEP_1)
	v_mul_f64_e32 v[46:47], v[46:47], v[52:53]
	v_fma_f64 v[42:43], v[44:45], v[42:43], -v[46:47]
	s_delay_alu instid0(VALU_DEP_1)
	v_cvt_f32_f64_e32 v39, v[42:43]
.LBB17_209:                             ;   in Loop: Header=BB17_153 Depth=2
	s_or_b32 exec_lo, exec_lo, s4
                                        ; implicit-def: $vgpr44
                                        ; implicit-def: $vgpr45
                                        ; implicit-def: $vgpr43
                                        ; implicit-def: $vgpr41
.LBB17_210:                             ;   in Loop: Header=BB17_153 Depth=2
	s_or_saveexec_b32 s3, s3
	v_mov_b32_e32 v42, 1
	s_xor_b32 exec_lo, exec_lo, s3
	s_cbranch_execz .LBB17_212
; %bb.211:                              ;   in Loop: Header=BB17_153 Depth=2
	v_sub_f32_e32 v38, v44, v6
	v_cvt_f64_f32_e32 v[44:45], v45
	v_cvt_f64_f32_e32 v[42:43], v43
	s_delay_alu instid0(VALU_DEP_3) | instskip(NEXT) | instid1(VALU_DEP_1)
	v_mul_f32_e32 v38, 0.5, v38
	v_cvt_f64_f32_e32 v[46:47], v38
	s_delay_alu instid0(VALU_DEP_1) | instskip(NEXT) | instid1(VALU_DEP_1)
	v_div_scale_f64 v[52:53], null, v[46:47], v[46:47], v[44:45]
	v_rcp_f64_e32 v[54:55], v[52:53]
	v_nop
	s_delay_alu instid0(TRANS32_DEP_1) | instskip(NEXT) | instid1(VALU_DEP_1)
	v_fma_f64 v[56:57], -v[52:53], v[54:55], 1.0
	v_fmac_f64_e32 v[54:55], v[54:55], v[56:57]
	s_delay_alu instid0(VALU_DEP_1) | instskip(NEXT) | instid1(VALU_DEP_1)
	v_fma_f64 v[56:57], -v[52:53], v[54:55], 1.0
	v_fmac_f64_e32 v[54:55], v[54:55], v[56:57]
	v_div_scale_f64 v[56:57], vcc_lo, v[44:45], v[46:47], v[44:45]
	s_delay_alu instid0(VALU_DEP_1) | instskip(NEXT) | instid1(VALU_DEP_1)
	v_mul_f64_e32 v[58:59], v[56:57], v[54:55]
	v_fma_f64 v[52:53], -v[52:53], v[58:59], v[56:57]
	s_delay_alu instid0(VALU_DEP_1) | instskip(NEXT) | instid1(VALU_DEP_1)
	v_div_fmas_f64 v[52:53], v[52:53], v[54:55], v[58:59]
	v_div_fixup_f64 v[44:45], v[52:53], v[46:47], v[44:45]
	v_cvt_f64_f32_e32 v[52:53], v41
	s_delay_alu instid0(VALU_DEP_1) | instskip(NEXT) | instid1(VALU_DEP_1)
	v_div_scale_f64 v[54:55], null, v[46:47], v[46:47], v[52:53]
	v_rcp_f64_e32 v[56:57], v[54:55]
	v_nop
	s_delay_alu instid0(TRANS32_DEP_1) | instskip(NEXT) | instid1(VALU_DEP_1)
	v_fma_f64 v[58:59], -v[54:55], v[56:57], 1.0
	v_fmac_f64_e32 v[56:57], v[56:57], v[58:59]
	s_delay_alu instid0(VALU_DEP_1) | instskip(NEXT) | instid1(VALU_DEP_1)
	v_fma_f64 v[58:59], -v[54:55], v[56:57], 1.0
	v_fmac_f64_e32 v[56:57], v[56:57], v[58:59]
	v_div_scale_f64 v[58:59], vcc_lo, v[52:53], v[46:47], v[52:53]
	s_delay_alu instid0(VALU_DEP_1) | instskip(NEXT) | instid1(VALU_DEP_1)
	v_mul_f64_e32 v[60:61], v[58:59], v[56:57]
	v_fma_f64 v[54:55], -v[54:55], v[60:61], v[58:59]
	s_delay_alu instid0(VALU_DEP_1) | instskip(NEXT) | instid1(VALU_DEP_1)
	v_div_fmas_f64 v[54:55], v[54:55], v[56:57], v[60:61]
	v_div_fixup_f64 v[46:47], v[54:55], v[46:47], v[52:53]
	s_delay_alu instid0(VALU_DEP_1) | instskip(NEXT) | instid1(VALU_DEP_1)
	v_mul_f64_e32 v[46:47], v[46:47], v[52:53]
	v_fma_f64 v[42:43], v[44:45], v[42:43], -v[46:47]
	s_delay_alu instid0(VALU_DEP_1)
	v_cvt_f32_f64_e32 v39, v[42:43]
	v_mov_b32_e32 v42, -1
.LBB17_212:                             ;   in Loop: Header=BB17_153 Depth=2
	s_or_b32 exec_lo, exec_lo, s3
	v_cmp_nle_f32_e64 s3, 0, v40
	s_mov_b32 s70, exec_lo
                                        ; implicit-def: $vgpr41
	v_cndmask_b32_e64 v6, v6, -v6, s3
	s_delay_alu instid0(VALU_DEP_1) | instskip(NEXT) | instid1(VALU_DEP_1)
	v_add_f32_e32 v6, v40, v6
                                        ; implicit-def: $vgpr40
	v_cmpx_ngt_f32_e64 |v6|, |v31|
	s_xor_b32 s70, exec_lo, s70
	s_cbranch_execz .LBB17_216
; %bb.213:                              ;   in Loop: Header=BB17_153 Depth=2
	v_dual_mov_b32 v40, 0 :: v_dual_mov_b32 v41, 1.0
	s_mov_b32 s71, exec_lo
	v_cmpx_neq_f32_e32 0, v31
	s_cbranch_execz .LBB17_215
; %bb.214:                              ;   in Loop: Header=BB17_153 Depth=2
	v_div_scale_f32 v40, null, v31, v31, -v6
	v_div_scale_f32 v44, vcc_lo, -v6, v31, -v6
	s_delay_alu instid0(VALU_DEP_2) | instskip(SKIP_1) | instid1(TRANS32_DEP_1)
	v_rcp_f32_e32 v41, v40
	v_nop
	v_fma_f32 v43, -v40, v41, 1.0
	s_delay_alu instid0(VALU_DEP_1) | instskip(NEXT) | instid1(VALU_DEP_1)
	v_fmac_f32_e32 v41, v43, v41
	v_mul_f32_e32 v43, v44, v41
	s_delay_alu instid0(VALU_DEP_1) | instskip(NEXT) | instid1(VALU_DEP_1)
	v_fma_f32 v45, -v40, v43, v44
	v_fmac_f32_e32 v43, v45, v41
	s_delay_alu instid0(VALU_DEP_1) | instskip(NEXT) | instid1(VALU_DEP_1)
	v_fma_f32 v40, -v40, v43, v44
	v_div_fmas_f32 v40, v40, v41, v43
	s_delay_alu instid0(VALU_DEP_1) | instskip(NEXT) | instid1(VALU_DEP_1)
	v_div_fixup_f32 v6, v40, v31, -v6
	v_fma_f32 v31, v6, v6, 1.0
	s_delay_alu instid0(VALU_DEP_1) | instskip(SKIP_1) | instid1(VALU_DEP_2)
	v_mul_f32_e32 v40, 0x4f800000, v31
	v_cmp_gt_f32_e32 vcc_lo, 0xf800000, v31
	v_cndmask_b32_e32 v31, v31, v40, vcc_lo
	s_delay_alu instid0(VALU_DEP_1) | instskip(SKIP_1) | instid1(TRANS32_DEP_1)
	v_sqrt_f32_e32 v40, v31
	v_nop
	v_dual_add_nc_u32 v41, -1, v40 :: v_dual_add_nc_u32 v43, 1, v40
	s_delay_alu instid0(VALU_DEP_1) | instskip(NEXT) | instid1(VALU_DEP_1)
	v_dual_fma_f32 v44, -v41, v40, v31 :: v_dual_fma_f32 v45, -v43, v40, v31
	v_cmp_ge_f32_e64 s4, 0, v44
	s_delay_alu instid0(VALU_DEP_1) | instskip(NEXT) | instid1(VALU_DEP_3)
	v_cndmask_b32_e64 v40, v40, v41, s4
	v_cmp_lt_f32_e64 s4, 0, v45
	s_delay_alu instid0(VALU_DEP_1) | instskip(NEXT) | instid1(VALU_DEP_1)
	v_cndmask_b32_e64 v40, v40, v43, s4
	v_mul_f32_e32 v41, 0x37800000, v40
	s_delay_alu instid0(VALU_DEP_1) | instskip(SKIP_1) | instid1(VALU_DEP_2)
	v_cndmask_b32_e32 v40, v40, v41, vcc_lo
	v_cmp_class_f32_e64 vcc_lo, v31, 0x260
	v_cndmask_b32_e32 v31, v40, v31, vcc_lo
	s_delay_alu instid0(VALU_DEP_1) | instskip(NEXT) | instid1(VALU_DEP_1)
	v_div_scale_f32 v40, null, v31, v31, 1.0
	v_rcp_f32_e32 v41, v40
	v_nop
	s_delay_alu instid0(TRANS32_DEP_1) | instskip(NEXT) | instid1(VALU_DEP_1)
	v_fma_f32 v43, -v40, v41, 1.0
	v_fmac_f32_e32 v41, v43, v41
	v_div_scale_f32 v43, vcc_lo, 1.0, v31, 1.0
	s_delay_alu instid0(VALU_DEP_1) | instskip(NEXT) | instid1(VALU_DEP_1)
	v_mul_f32_e32 v44, v43, v41
	v_fma_f32 v45, -v40, v44, v43
	s_delay_alu instid0(VALU_DEP_1) | instskip(NEXT) | instid1(VALU_DEP_1)
	v_fmac_f32_e32 v44, v45, v41
	v_fma_f32 v40, -v40, v44, v43
	s_delay_alu instid0(VALU_DEP_1) | instskip(NEXT) | instid1(VALU_DEP_1)
	v_div_fmas_f32 v40, v40, v41, v44
	v_div_fixup_f32 v41, v40, v31, 1.0
	s_delay_alu instid0(VALU_DEP_1)
	v_mul_f32_e32 v40, v6, v41
.LBB17_215:                             ;   in Loop: Header=BB17_153 Depth=2
	s_or_b32 exec_lo, exec_lo, s71
                                        ; implicit-def: $vgpr6
                                        ; implicit-def: $vgpr31
.LBB17_216:                             ;   in Loop: Header=BB17_153 Depth=2
	s_and_not1_saveexec_b32 s70, s70
	s_cbranch_execz .LBB17_218
; %bb.217:                              ;   in Loop: Header=BB17_153 Depth=2
	v_div_scale_f32 v40, null, v6, v6, -v31
	v_div_scale_f32 v44, vcc_lo, -v31, v6, -v31
	s_delay_alu instid0(VALU_DEP_2) | instskip(SKIP_1) | instid1(TRANS32_DEP_1)
	v_rcp_f32_e32 v41, v40
	v_nop
	v_fma_f32 v43, -v40, v41, 1.0
	s_delay_alu instid0(VALU_DEP_1) | instskip(NEXT) | instid1(VALU_DEP_1)
	v_fmac_f32_e32 v41, v43, v41
	v_mul_f32_e32 v43, v44, v41
	s_delay_alu instid0(VALU_DEP_1) | instskip(NEXT) | instid1(VALU_DEP_1)
	v_fma_f32 v45, -v40, v43, v44
	v_fmac_f32_e32 v43, v45, v41
	s_delay_alu instid0(VALU_DEP_1) | instskip(NEXT) | instid1(VALU_DEP_1)
	v_fma_f32 v40, -v40, v43, v44
	v_div_fmas_f32 v40, v40, v41, v43
	s_delay_alu instid0(VALU_DEP_1) | instskip(NEXT) | instid1(VALU_DEP_1)
	v_div_fixup_f32 v6, v40, v6, -v31
	v_fma_f32 v31, v6, v6, 1.0
	s_delay_alu instid0(VALU_DEP_1) | instskip(SKIP_1) | instid1(VALU_DEP_2)
	v_mul_f32_e32 v40, 0x4f800000, v31
	v_cmp_gt_f32_e32 vcc_lo, 0xf800000, v31
	v_cndmask_b32_e32 v31, v31, v40, vcc_lo
	s_delay_alu instid0(VALU_DEP_1) | instskip(SKIP_1) | instid1(TRANS32_DEP_1)
	v_sqrt_f32_e32 v40, v31
	v_nop
	v_dual_add_nc_u32 v41, -1, v40 :: v_dual_add_nc_u32 v43, 1, v40
	s_delay_alu instid0(VALU_DEP_1) | instskip(NEXT) | instid1(VALU_DEP_1)
	v_dual_fma_f32 v44, -v41, v40, v31 :: v_dual_fma_f32 v45, -v43, v40, v31
	v_cmp_ge_f32_e64 s4, 0, v44
	s_delay_alu instid0(VALU_DEP_1) | instskip(NEXT) | instid1(VALU_DEP_3)
	v_cndmask_b32_e64 v40, v40, v41, s4
	v_cmp_lt_f32_e64 s4, 0, v45
	s_delay_alu instid0(VALU_DEP_1) | instskip(NEXT) | instid1(VALU_DEP_1)
	v_cndmask_b32_e64 v40, v40, v43, s4
	v_mul_f32_e32 v41, 0x37800000, v40
	s_delay_alu instid0(VALU_DEP_1) | instskip(SKIP_1) | instid1(VALU_DEP_2)
	v_cndmask_b32_e32 v40, v40, v41, vcc_lo
	v_cmp_class_f32_e64 vcc_lo, v31, 0x260
	v_cndmask_b32_e32 v31, v40, v31, vcc_lo
	s_delay_alu instid0(VALU_DEP_1) | instskip(NEXT) | instid1(VALU_DEP_1)
	v_div_scale_f32 v40, null, v31, v31, 1.0
	v_rcp_f32_e32 v41, v40
	v_nop
	s_delay_alu instid0(TRANS32_DEP_1) | instskip(NEXT) | instid1(VALU_DEP_1)
	v_fma_f32 v43, -v40, v41, 1.0
	v_fmac_f32_e32 v41, v43, v41
	v_div_scale_f32 v43, vcc_lo, 1.0, v31, 1.0
	s_delay_alu instid0(VALU_DEP_1) | instskip(NEXT) | instid1(VALU_DEP_1)
	v_mul_f32_e32 v44, v43, v41
	v_fma_f32 v45, -v40, v44, v43
	s_delay_alu instid0(VALU_DEP_1) | instskip(NEXT) | instid1(VALU_DEP_1)
	v_fmac_f32_e32 v44, v45, v41
	v_fma_f32 v40, -v40, v44, v43
	s_delay_alu instid0(VALU_DEP_1) | instskip(NEXT) | instid1(VALU_DEP_1)
	v_div_fmas_f32 v40, v40, v41, v44
	v_div_fixup_f32 v40, v40, v31, 1.0
	s_delay_alu instid0(VALU_DEP_1)
	v_mul_f32_e32 v41, v6, v40
.LBB17_218:                             ;   in Loop: Header=BB17_153 Depth=2
	s_or_b32 exec_lo, exec_lo, s70
	v_cndmask_b32_e64 v6, 1, -1, s3
	v_lshl_add_u64 v[36:37], v[36:37], 2, s[44:45]
	v_add_nc_u32_e32 v30, 2, v30
	s_delay_alu instid0(VALU_DEP_3) | instskip(SKIP_1) | instid1(VALU_DEP_4)
	v_cmp_eq_u32_e32 vcc_lo, v42, v6
	v_dual_cndmask_b32 v6, v40, v41, vcc_lo :: v_dual_cndmask_b32 v31, v41, -v40, vcc_lo
	v_lshl_add_u64 v[40:41], s[6:7], 2, v[36:37]
	s_clause 0x1
	global_store_b32 v[36:37], v31, off
	global_store_b32 v[40:41], v6, off offset:-4
	global_store_b64 v[32:33], v[38:39], off
	global_store_b32 v[34:35], v48, off
	ds_store_b32 v48, v30
	s_wait_xcnt 0x0
	s_or_b32 exec_lo, exec_lo, s35
                                        ; implicit-def: $vgpr6
.LBB17_219:                             ;   in Loop: Header=BB17_153 Depth=2
	s_and_not1_saveexec_b32 s3, s33
.LBB17_220:                             ;   in Loop: Header=BB17_153 Depth=2
	ds_store_b32 v48, v6
.LBB17_221:                             ;   in Loop: Header=BB17_153 Depth=2
	s_or_b32 exec_lo, exec_lo, s3
.LBB17_222:                             ;   in Loop: Header=BB17_153 Depth=2
	s_delay_alu instid0(SALU_CYCLE_1)
	s_or_b32 exec_lo, exec_lo, s31
	s_wait_storecnt_dscnt 0x0
	s_barrier_signal -1
	s_barrier_wait -1
	ds_load_b64 v[30:31], v48
	s_wait_dscnt 0x0
	v_readfirstlane_b32 s4, v31
	s_delay_alu instid0(VALU_DEP_1)
	v_cmp_eq_u32_e32 vcc_lo, s4, v30
	v_mov_b32_e32 v30, s4
	s_cbranch_vccnz .LBB17_152
; %bb.223:                              ;   in Loop: Header=BB17_153 Depth=2
	s_and_saveexec_b32 s3, s0
	s_cbranch_execz .LBB17_151
; %bb.224:                              ;   in Loop: Header=BB17_153 Depth=2
	ds_load_b32 v30, v48 offset:16
	s_mov_b32 s33, 0
	s_wait_dscnt 0x0
	v_dual_mov_b32 v34, v0 :: v_dual_ashrrev_i32 v31, 31, v30
	v_readfirstlane_b32 s31, v30
	s_delay_alu instid0(VALU_DEP_2)
	v_lshlrev_b64_e32 v[30:31], 2, v[30:31]
	s_sub_co_i32 s70, s4, s31
	s_mul_i32 s72, s31, s11
	s_ashr_i32 s71, s70, 31
	s_ashr_i32 s73, s72, 31
	s_mul_u64 s[74:75], s[70:71], s[46:47]
	s_lshl_b64 s[72:73], s[72:73], 3
	s_lshl_b64 s[74:75], s[74:75], 3
	s_cmp_gt_i32 s70, 0
	s_cselect_b32 s31, -1, 0
	s_add_co_i32 s4, s70, -1
	s_delay_alu instid0(SALU_CYCLE_1) | instskip(NEXT) | instid1(SALU_CYCLE_1)
	s_lshl_b64 s[76:77], s[4:5], 2
	v_add_nc_u64_e32 v[30:31], s[76:77], v[30:31]
	s_mul_u64 s[76:77], s[62:63], s[4:5]
	s_delay_alu instid0(SALU_CYCLE_1) | instskip(SKIP_3) | instid1(VALU_DEP_2)
	s_add_nc_u64 s[76:77], s[76:77], s[72:73]
	s_add_nc_u64 s[72:73], s[42:43], s[72:73]
	v_add_nc_u64_e32 v[32:33], s[76:77], v[2:3]
	s_add_nc_u64 s[74:75], s[72:73], s[74:75]
	v_add_nc_u64_e32 v[30:31], s[44:45], v[30:31]
	s_branch .LBB17_226
.LBB17_225:                             ;   in Loop: Header=BB17_226 Depth=3
	s_wait_xcnt 0x0
	v_add_nc_u32_e32 v34, s30, v34
	v_add_nc_u64_e32 v[32:33], s[64:65], v[32:33]
	s_wait_loadcnt 0x0
	global_store_b64 v[38:39], v[36:37], off
	v_cmp_le_i32_e32 vcc_lo, s6, v34
	s_or_b32 s33, vcc_lo, s33
	s_wait_xcnt 0x0
	s_and_not1_b32 exec_lo, exec_lo, s33
	s_cbranch_execz .LBB17_151
.LBB17_226:                             ;   Parent Loop BB17_7 Depth=1
                                        ;     Parent Loop BB17_153 Depth=2
                                        ; =>    This Loop Header: Depth=3
                                        ;         Child Loop BB17_227 Depth 4
	global_load_b64 v[36:37], v34, s[74:75] scale_offset
	v_ashrrev_i32_e32 v35, 31, v34
	v_mov_b64_e32 v[40:41], v[32:33]
	v_mov_b64_e32 v[42:43], v[30:31]
	s_and_not1_b32 vcc_lo, exec_lo, s31
	s_mov_b32 s4, s70
	v_lshl_add_u64 v[38:39], v[34:35], 3, s[72:73]
	s_cbranch_vccnz .LBB17_225
.LBB17_227:                             ;   Parent Loop BB17_7 Depth=1
                                        ;     Parent Loop BB17_153 Depth=2
                                        ;       Parent Loop BB17_226 Depth=3
                                        ; =>      This Inner Loop Header: Depth=4
	s_wait_xcnt 0x0
	s_delay_alu instid0(VALU_DEP_2)
	v_add_nc_u64_e32 v[44:45], s[60:61], v[42:43]
	s_mul_u64 s[76:77], s[4:5], s[46:47]
	s_add_co_i32 s35, s4, -1
	v_lshl_add_u64 v[54:55], s[76:77], 3, v[38:39]
	s_cmp_eq_u32 s35, 0
	s_mov_b32 s4, s35
	global_load_b64 v[46:47], v[40:41], off
	s_clause 0x1
	global_load_b32 v6, v[44:45], off
	global_load_b32 v44, v[42:43], off
	s_wait_xcnt 0x0
	v_add_nc_u64_e32 v[42:43], -4, v[42:43]
	v_add_nc_u64_e32 v[40:41], s[66:67], v[40:41]
	s_wait_loadcnt 0x1
	v_pk_mul_f32 v[52:53], v[6:7], v[46:47] op_sel_hi:[0,1]
	s_wait_loadcnt 0x0
	v_pk_mul_f32 v[46:47], v[44:45], v[46:47] op_sel_hi:[0,1]
	s_delay_alu instid0(VALU_DEP_2) | instskip(NEXT) | instid1(VALU_DEP_2)
	v_pk_fma_f32 v[44:45], v[36:37], v[44:45], v[52:53] op_sel_hi:[1,0,1] neg_lo:[0,0,1] neg_hi:[0,0,1]
	v_pk_fma_f32 v[36:37], v[36:37], v[6:7], v[46:47] op_sel_hi:[1,0,1]
	global_store_b64 v[54:55], v[44:45], off
	s_cbranch_scc0 .LBB17_227
	s_branch .LBB17_225
.LBB17_228:                             ;   in Loop: Header=BB17_153 Depth=2
	s_or_b32 exec_lo, exec_lo, s35
                                        ; implicit-def: $vgpr6
	s_and_not1_saveexec_b32 s3, s33
	s_cbranch_execnz .LBB17_220
	s_branch .LBB17_221
.LBB17_229:
	s_mov_b32 s3, exec_lo
	v_cmpx_gt_i32_e64 s34, v0
	s_cbranch_execz .LBB17_235
; %bb.230:
	v_ashrrev_i32_e32 v1, 31, v0
	s_lshl_b64 s[0:1], s[38:39], 2
	s_lshl_b64 s[4:5], s[36:37], 2
	s_add_nc_u64 s[0:1], s[20:21], s[0:1]
	s_ashr_i32 s31, s30, 31
	v_lshl_add_u64 v[2:3], v[0:1], 2, s[0:1]
	v_mov_b32_e32 v1, 0
	s_add_nc_u64 s[0:1], s[14:15], s[4:5]
	s_lshl_b64 s[4:5], s[30:31], 2
	s_mov_b32 s7, 0
	s_branch .LBB17_232
.LBB17_231:                             ;   in Loop: Header=BB17_232 Depth=1
	s_wait_xcnt 0x0
	s_or_b32 exec_lo, exec_lo, s10
	v_add_nc_u32_e32 v0, s30, v0
	v_add_nc_u64_e32 v[2:3], s[4:5], v[2:3]
	s_delay_alu instid0(VALU_DEP_2) | instskip(SKIP_1) | instid1(SALU_CYCLE_1)
	v_cmp_le_i32_e32 vcc_lo, s34, v0
	s_or_b32 s7, vcc_lo, s7
	s_and_not1_b32 exec_lo, exec_lo, s7
	s_cbranch_execz .LBB17_235
.LBB17_232:                             ; =>This Inner Loop Header: Depth=1
	global_load_b32 v4, v[2:3], off
	s_mov_b32 s10, exec_lo
	s_wait_loadcnt 0x0
	s_wait_xcnt 0x0
	v_cmpx_neq_f32_e32 0, v4
	s_cbranch_execz .LBB17_231
; %bb.233:                              ;   in Loop: Header=BB17_232 Depth=1
	s_mov_b32 s14, exec_lo
	s_delay_alu instid0(SALU_CYCLE_1) | instskip(NEXT) | instid1(VALU_DEP_1)
	v_mbcnt_lo_u32_b32 v4, s14, 0
	v_cmp_eq_u32_e32 vcc_lo, 0, v4
	s_and_b32 s15, exec_lo, vcc_lo
	s_delay_alu instid0(SALU_CYCLE_1)
	s_mov_b32 exec_lo, s15
	s_cbranch_execz .LBB17_231
; %bb.234:                              ;   in Loop: Header=BB17_232 Depth=1
	s_bcnt1_i32_b32 s14, s14
	s_delay_alu instid0(SALU_CYCLE_1)
	v_mov_b32_e32 v4, s14
	global_atomic_add_u32 v1, v4, s[0:1] scope:SCOPE_DEV
	s_branch .LBB17_231
.LBB17_235:
	s_or_b32 exec_lo, exec_lo, s3
	s_cmp_lt_i32 s6, 2
	s_cbranch_scc1 .LBB17_248
; %bb.236:
	s_lshl_b64 s[0:1], s[12:13], 3
	s_lshl_b64 s[4:5], s[22:23], 3
	v_mov_b32_e32 v0, 0
	s_add_nc_u64 s[12:13], s[16:17], s[28:29]
	s_add_nc_u64 s[4:5], s[0:1], s[4:5]
	;; [unrolled: 1-line block ×4, first 2 shown]
	s_mov_b32 s8, 1
	s_branch .LBB17_238
.LBB17_237:                             ;   in Loop: Header=BB17_238 Depth=1
	s_add_co_i32 s8, s8, 1
	s_add_nc_u64 s[0:1], s[0:1], 4
	s_cmp_lg_u32 s8, s6
	s_wait_storecnt 0x0
	s_barrier_signal -1
	s_barrier_wait -1
	s_cbranch_scc0 .LBB17_248
.LBB17_238:                             ; =>This Loop Header: Depth=1
                                        ;     Child Loop BB17_241 Depth 2
                                        ;     Child Loop BB17_247 Depth 2
	s_and_saveexec_b32 s3, s2
	s_cbranch_execz .LBB17_245
; %bb.239:                              ;   in Loop: Header=BB17_238 Depth=1
	s_add_co_i32 s7, s8, -1
	s_delay_alu instid0(SALU_CYCLE_1)
	v_dual_mov_b32 v1, s8 :: v_dual_mov_b32 v4, s7
	s_ashr_i32 s9, s8, 31
	s_mov_b64 s[14:15], s[0:1]
	s_lshl_b64 s[12:13], s[8:9], 2
	global_load_b32 v1, v1, s[18:19] offset:-4 scale_offset
	v_mov_b32_e32 v5, s7
	s_add_nc_u64 s[12:13], s[18:19], s[12:13]
	s_mov_b32 s9, s7
	s_mov_b32 s10, s8
	s_wait_loadcnt 0x0
	v_mov_b32_e32 v2, v1
	ds_store_b64 v0, v[4:5]
	ds_store_b32 v0, v1 offset:8
	s_branch .LBB17_241
.LBB17_240:                             ;   in Loop: Header=BB17_241 Depth=2
	s_add_co_i32 s10, s10, 1
	s_wait_xcnt 0x0
	s_add_nc_u64 s[14:15], s[14:15], 4
	s_cmp_eq_u32 s6, s10
	s_cbranch_scc1 .LBB17_243
.LBB17_241:                             ;   Parent Loop BB17_238 Depth=1
                                        ; =>  This Inner Loop Header: Depth=2
	global_load_b32 v3, v0, s[14:15]
	s_wait_loadcnt 0x0
	v_cmp_nlt_f32_e32 vcc_lo, v3, v2
	s_cbranch_vccnz .LBB17_240
; %bb.242:                              ;   in Loop: Header=BB17_241 Depth=2
	v_dual_mov_b32 v4, s10 :: v_dual_mov_b32 v2, v3
	s_mov_b32 s9, s10
	ds_store_2addr_b32 v0, v4, v3 offset0:1 offset1:2
	s_branch .LBB17_240
.LBB17_243:                             ;   in Loop: Header=BB17_238 Depth=1
	s_cmp_lg_u32 s9, s7
	s_cbranch_scc0 .LBB17_245
; %bb.244:                              ;   in Loop: Header=BB17_238 Depth=1
	v_mov_b32_e32 v3, s9
	s_clause 0x1
	global_store_b32 v3, v1, s[18:19] scale_offset
	global_store_b32 v0, v2, s[12:13] offset:-4
.LBB17_245:                             ;   in Loop: Header=BB17_238 Depth=1
	s_wait_xcnt 0x0
	s_or_b32 exec_lo, exec_lo, s3
	s_wait_storecnt_dscnt 0x0
	s_barrier_signal -1
	s_barrier_wait -1
	ds_load_b64 v[2:3], v0
	s_wait_dscnt 0x0
	v_readfirstlane_b32 s3, v2
	v_readfirstlane_b32 s7, v3
	s_cmp_eq_u32 s7, s3
	s_cbranch_scc1 .LBB17_237
; %bb.246:                              ;   in Loop: Header=BB17_238 Depth=1
	s_mul_i32 s12, s7, s11
	s_mul_i32 s14, s3, s11
	s_ashr_i32 s13, s12, 31
	s_ashr_i32 s15, s14, 31
	s_lshl_b64 s[12:13], s[12:13], 3
	s_lshl_b64 s[14:15], s[14:15], 3
	s_add_nc_u64 s[12:13], s[4:5], s[12:13]
	s_add_nc_u64 s[14:15], s[4:5], s[14:15]
	s_mov_b32 s3, s6
.LBB17_247:                             ;   Parent Loop BB17_238 Depth=1
                                        ; =>  This Inner Loop Header: Depth=2
	s_clause 0x1
	global_load_b64 v[2:3], v0, s[12:13]
	global_load_b64 v[4:5], v0, s[14:15]
	s_add_co_i32 s3, s3, -1
	s_wait_loadcnt 0x1
	global_store_b64 v0, v[2:3], s[14:15]
	s_wait_loadcnt 0x0
	global_store_b64 v0, v[4:5], s[12:13]
	s_cmp_lg_u32 s3, 0
	s_wait_xcnt 0x0
	s_add_nc_u64 s[12:13], s[12:13], 8
	s_add_nc_u64 s[14:15], s[14:15], 8
	s_cbranch_scc1 .LBB17_247
	s_branch .LBB17_237
.LBB17_248:
	s_endpgm
	.section	.rodata,"a",@progbits
	.p2align	6, 0x0
	.amdhsa_kernel _ZN9rocsolver6v33100L12steqr_kernelI19rocblas_complex_numIfEfPS3_EEviPT0_lS6_lT1_iilPiS6_iS5_S5_S5_
		.amdhsa_group_segment_fixed_size 36
		.amdhsa_private_segment_fixed_size 0
		.amdhsa_kernarg_size 352
		.amdhsa_user_sgpr_count 2
		.amdhsa_user_sgpr_dispatch_ptr 0
		.amdhsa_user_sgpr_queue_ptr 0
		.amdhsa_user_sgpr_kernarg_segment_ptr 1
		.amdhsa_user_sgpr_dispatch_id 0
		.amdhsa_user_sgpr_kernarg_preload_length 0
		.amdhsa_user_sgpr_kernarg_preload_offset 0
		.amdhsa_user_sgpr_private_segment_size 0
		.amdhsa_wavefront_size32 1
		.amdhsa_uses_dynamic_stack 0
		.amdhsa_enable_private_segment 0
		.amdhsa_system_sgpr_workgroup_id_x 1
		.amdhsa_system_sgpr_workgroup_id_y 1
		.amdhsa_system_sgpr_workgroup_id_z 0
		.amdhsa_system_sgpr_workgroup_info 0
		.amdhsa_system_vgpr_workitem_id 0
		.amdhsa_next_free_vgpr 62
		.amdhsa_next_free_sgpr 84
		.amdhsa_named_barrier_count 0
		.amdhsa_reserve_vcc 1
		.amdhsa_float_round_mode_32 0
		.amdhsa_float_round_mode_16_64 0
		.amdhsa_float_denorm_mode_32 3
		.amdhsa_float_denorm_mode_16_64 3
		.amdhsa_fp16_overflow 0
		.amdhsa_memory_ordered 1
		.amdhsa_forward_progress 1
		.amdhsa_inst_pref_size 120
		.amdhsa_round_robin_scheduling 0
		.amdhsa_exception_fp_ieee_invalid_op 0
		.amdhsa_exception_fp_denorm_src 0
		.amdhsa_exception_fp_ieee_div_zero 0
		.amdhsa_exception_fp_ieee_overflow 0
		.amdhsa_exception_fp_ieee_underflow 0
		.amdhsa_exception_fp_ieee_inexact 0
		.amdhsa_exception_int_div_zero 0
	.end_amdhsa_kernel
	.section	.text._ZN9rocsolver6v33100L12steqr_kernelI19rocblas_complex_numIfEfPS3_EEviPT0_lS6_lT1_iilPiS6_iS5_S5_S5_,"axG",@progbits,_ZN9rocsolver6v33100L12steqr_kernelI19rocblas_complex_numIfEfPS3_EEviPT0_lS6_lT1_iilPiS6_iS5_S5_S5_,comdat
.Lfunc_end17:
	.size	_ZN9rocsolver6v33100L12steqr_kernelI19rocblas_complex_numIfEfPS3_EEviPT0_lS6_lT1_iilPiS6_iS5_S5_S5_, .Lfunc_end17-_ZN9rocsolver6v33100L12steqr_kernelI19rocblas_complex_numIfEfPS3_EEviPT0_lS6_lT1_iilPiS6_iS5_S5_S5_
                                        ; -- End function
	.set _ZN9rocsolver6v33100L12steqr_kernelI19rocblas_complex_numIfEfPS3_EEviPT0_lS6_lT1_iilPiS6_iS5_S5_S5_.num_vgpr, 62
	.set _ZN9rocsolver6v33100L12steqr_kernelI19rocblas_complex_numIfEfPS3_EEviPT0_lS6_lT1_iilPiS6_iS5_S5_S5_.num_agpr, 0
	.set _ZN9rocsolver6v33100L12steqr_kernelI19rocblas_complex_numIfEfPS3_EEviPT0_lS6_lT1_iilPiS6_iS5_S5_S5_.numbered_sgpr, 84
	.set _ZN9rocsolver6v33100L12steqr_kernelI19rocblas_complex_numIfEfPS3_EEviPT0_lS6_lT1_iilPiS6_iS5_S5_S5_.num_named_barrier, 0
	.set _ZN9rocsolver6v33100L12steqr_kernelI19rocblas_complex_numIfEfPS3_EEviPT0_lS6_lT1_iilPiS6_iS5_S5_S5_.private_seg_size, 0
	.set _ZN9rocsolver6v33100L12steqr_kernelI19rocblas_complex_numIfEfPS3_EEviPT0_lS6_lT1_iilPiS6_iS5_S5_S5_.uses_vcc, 1
	.set _ZN9rocsolver6v33100L12steqr_kernelI19rocblas_complex_numIfEfPS3_EEviPT0_lS6_lT1_iilPiS6_iS5_S5_S5_.uses_flat_scratch, 0
	.set _ZN9rocsolver6v33100L12steqr_kernelI19rocblas_complex_numIfEfPS3_EEviPT0_lS6_lT1_iilPiS6_iS5_S5_S5_.has_dyn_sized_stack, 0
	.set _ZN9rocsolver6v33100L12steqr_kernelI19rocblas_complex_numIfEfPS3_EEviPT0_lS6_lT1_iilPiS6_iS5_S5_S5_.has_recursion, 0
	.set _ZN9rocsolver6v33100L12steqr_kernelI19rocblas_complex_numIfEfPS3_EEviPT0_lS6_lT1_iilPiS6_iS5_S5_S5_.has_indirect_call, 0
	.section	.AMDGPU.csdata,"",@progbits
; Kernel info:
; codeLenInByte = 15352
; TotalNumSgprs: 86
; NumVgprs: 62
; ScratchSize: 0
; MemoryBound: 0
; FloatMode: 240
; IeeeMode: 1
; LDSByteSize: 36 bytes/workgroup (compile time only)
; SGPRBlocks: 0
; VGPRBlocks: 3
; NumSGPRsForWavesPerEU: 86
; NumVGPRsForWavesPerEU: 62
; NamedBarCnt: 0
; Occupancy: 16
; WaveLimiterHint : 0
; COMPUTE_PGM_RSRC2:SCRATCH_EN: 0
; COMPUTE_PGM_RSRC2:USER_SGPR: 2
; COMPUTE_PGM_RSRC2:TRAP_HANDLER: 0
; COMPUTE_PGM_RSRC2:TGID_X_EN: 1
; COMPUTE_PGM_RSRC2:TGID_Y_EN: 1
; COMPUTE_PGM_RSRC2:TGID_Z_EN: 0
; COMPUTE_PGM_RSRC2:TIDIG_COMP_CNT: 0
	.section	.text._ZN9rocsolver6v33100L16reset_batch_infoI19rocblas_complex_numIdEiiPS3_EEvT2_lT0_T1_,"axG",@progbits,_ZN9rocsolver6v33100L16reset_batch_infoI19rocblas_complex_numIdEiiPS3_EEvT2_lT0_T1_,comdat
	.globl	_ZN9rocsolver6v33100L16reset_batch_infoI19rocblas_complex_numIdEiiPS3_EEvT2_lT0_T1_ ; -- Begin function _ZN9rocsolver6v33100L16reset_batch_infoI19rocblas_complex_numIdEiiPS3_EEvT2_lT0_T1_
	.p2align	8
	.type	_ZN9rocsolver6v33100L16reset_batch_infoI19rocblas_complex_numIdEiiPS3_EEvT2_lT0_T1_,@function
_ZN9rocsolver6v33100L16reset_batch_infoI19rocblas_complex_numIdEiiPS3_EEvT2_lT0_T1_: ; @_ZN9rocsolver6v33100L16reset_batch_infoI19rocblas_complex_numIdEiiPS3_EEvT2_lT0_T1_
; %bb.0:
	s_clause 0x1
	s_load_b32 s5, s[0:1], 0x24
	s_load_b64 s[2:3], s[0:1], 0x10
	s_bfe_u32 s4, ttmp6, 0x4000c
	s_and_b32 s6, ttmp6, 15
	s_add_co_i32 s7, s4, 1
	s_getreg_b32 s4, hwreg(HW_REG_IB_STS2, 6, 4)
	s_mul_i32 s7, ttmp9, s7
	s_delay_alu instid0(SALU_CYCLE_1) | instskip(SKIP_4) | instid1(SALU_CYCLE_1)
	s_add_co_i32 s6, s6, s7
	s_wait_kmcnt 0x0
	s_and_b32 s5, s5, 0xffff
	s_cmp_eq_u32 s4, 0
	s_cselect_b32 s6, ttmp9, s6
	v_mad_u32 v0, s6, s5, v0
	s_delay_alu instid0(VALU_DEP_1)
	v_cmp_gt_i32_e32 vcc_lo, s2, v0
	s_and_saveexec_b32 s2, vcc_lo
	s_cbranch_execz .LBB18_2
; %bb.1:
	v_cvt_f64_i32_e32 v[2:3], s3
	s_load_b128 s[0:3], s[0:1], 0x0
	s_bfe_u32 s5, ttmp6, 0x40010
	s_bfe_u32 s6, ttmp6, 0x40004
	s_add_co_i32 s5, s5, 1
	v_mov_b32_e32 v4, 0
	s_mul_i32 s5, ttmp7, s5
	s_delay_alu instid0(SALU_CYCLE_1) | instskip(SKIP_1) | instid1(VALU_DEP_1)
	s_add_co_i32 s6, s6, s5
	s_cmp_eq_u32 s4, 0
	v_mov_b32_e32 v5, v4
	s_cselect_b32 s4, ttmp7, s6
	s_delay_alu instid0(SALU_CYCLE_1) | instskip(SKIP_2) | instid1(SALU_CYCLE_1)
	s_ashr_i32 s5, s4, 31
	s_wait_kmcnt 0x0
	s_mul_u64 s[2:3], s[2:3], s[4:5]
	s_lshl_b64 s[2:3], s[2:3], 4
	s_delay_alu instid0(SALU_CYCLE_1)
	s_add_nc_u64 s[0:1], s[0:1], s[2:3]
	global_store_b128 v0, v[2:5], s[0:1] scale_offset
.LBB18_2:
	s_endpgm
	.section	.rodata,"a",@progbits
	.p2align	6, 0x0
	.amdhsa_kernel _ZN9rocsolver6v33100L16reset_batch_infoI19rocblas_complex_numIdEiiPS3_EEvT2_lT0_T1_
		.amdhsa_group_segment_fixed_size 0
		.amdhsa_private_segment_fixed_size 0
		.amdhsa_kernarg_size 280
		.amdhsa_user_sgpr_count 2
		.amdhsa_user_sgpr_dispatch_ptr 0
		.amdhsa_user_sgpr_queue_ptr 0
		.amdhsa_user_sgpr_kernarg_segment_ptr 1
		.amdhsa_user_sgpr_dispatch_id 0
		.amdhsa_user_sgpr_kernarg_preload_length 0
		.amdhsa_user_sgpr_kernarg_preload_offset 0
		.amdhsa_user_sgpr_private_segment_size 0
		.amdhsa_wavefront_size32 1
		.amdhsa_uses_dynamic_stack 0
		.amdhsa_enable_private_segment 0
		.amdhsa_system_sgpr_workgroup_id_x 1
		.amdhsa_system_sgpr_workgroup_id_y 1
		.amdhsa_system_sgpr_workgroup_id_z 0
		.amdhsa_system_sgpr_workgroup_info 0
		.amdhsa_system_vgpr_workitem_id 0
		.amdhsa_next_free_vgpr 6
		.amdhsa_next_free_sgpr 8
		.amdhsa_named_barrier_count 0
		.amdhsa_reserve_vcc 1
		.amdhsa_float_round_mode_32 0
		.amdhsa_float_round_mode_16_64 0
		.amdhsa_float_denorm_mode_32 3
		.amdhsa_float_denorm_mode_16_64 3
		.amdhsa_fp16_overflow 0
		.amdhsa_memory_ordered 1
		.amdhsa_forward_progress 1
		.amdhsa_inst_pref_size 2
		.amdhsa_round_robin_scheduling 0
		.amdhsa_exception_fp_ieee_invalid_op 0
		.amdhsa_exception_fp_denorm_src 0
		.amdhsa_exception_fp_ieee_div_zero 0
		.amdhsa_exception_fp_ieee_overflow 0
		.amdhsa_exception_fp_ieee_underflow 0
		.amdhsa_exception_fp_ieee_inexact 0
		.amdhsa_exception_int_div_zero 0
	.end_amdhsa_kernel
	.section	.text._ZN9rocsolver6v33100L16reset_batch_infoI19rocblas_complex_numIdEiiPS3_EEvT2_lT0_T1_,"axG",@progbits,_ZN9rocsolver6v33100L16reset_batch_infoI19rocblas_complex_numIdEiiPS3_EEvT2_lT0_T1_,comdat
.Lfunc_end18:
	.size	_ZN9rocsolver6v33100L16reset_batch_infoI19rocblas_complex_numIdEiiPS3_EEvT2_lT0_T1_, .Lfunc_end18-_ZN9rocsolver6v33100L16reset_batch_infoI19rocblas_complex_numIdEiiPS3_EEvT2_lT0_T1_
                                        ; -- End function
	.set _ZN9rocsolver6v33100L16reset_batch_infoI19rocblas_complex_numIdEiiPS3_EEvT2_lT0_T1_.num_vgpr, 6
	.set _ZN9rocsolver6v33100L16reset_batch_infoI19rocblas_complex_numIdEiiPS3_EEvT2_lT0_T1_.num_agpr, 0
	.set _ZN9rocsolver6v33100L16reset_batch_infoI19rocblas_complex_numIdEiiPS3_EEvT2_lT0_T1_.numbered_sgpr, 8
	.set _ZN9rocsolver6v33100L16reset_batch_infoI19rocblas_complex_numIdEiiPS3_EEvT2_lT0_T1_.num_named_barrier, 0
	.set _ZN9rocsolver6v33100L16reset_batch_infoI19rocblas_complex_numIdEiiPS3_EEvT2_lT0_T1_.private_seg_size, 0
	.set _ZN9rocsolver6v33100L16reset_batch_infoI19rocblas_complex_numIdEiiPS3_EEvT2_lT0_T1_.uses_vcc, 1
	.set _ZN9rocsolver6v33100L16reset_batch_infoI19rocblas_complex_numIdEiiPS3_EEvT2_lT0_T1_.uses_flat_scratch, 0
	.set _ZN9rocsolver6v33100L16reset_batch_infoI19rocblas_complex_numIdEiiPS3_EEvT2_lT0_T1_.has_dyn_sized_stack, 0
	.set _ZN9rocsolver6v33100L16reset_batch_infoI19rocblas_complex_numIdEiiPS3_EEvT2_lT0_T1_.has_recursion, 0
	.set _ZN9rocsolver6v33100L16reset_batch_infoI19rocblas_complex_numIdEiiPS3_EEvT2_lT0_T1_.has_indirect_call, 0
	.section	.AMDGPU.csdata,"",@progbits
; Kernel info:
; codeLenInByte = 200
; TotalNumSgprs: 10
; NumVgprs: 6
; ScratchSize: 0
; MemoryBound: 0
; FloatMode: 240
; IeeeMode: 1
; LDSByteSize: 0 bytes/workgroup (compile time only)
; SGPRBlocks: 0
; VGPRBlocks: 0
; NumSGPRsForWavesPerEU: 10
; NumVGPRsForWavesPerEU: 6
; NamedBarCnt: 0
; Occupancy: 16
; WaveLimiterHint : 0
; COMPUTE_PGM_RSRC2:SCRATCH_EN: 0
; COMPUTE_PGM_RSRC2:USER_SGPR: 2
; COMPUTE_PGM_RSRC2:TRAP_HANDLER: 0
; COMPUTE_PGM_RSRC2:TGID_X_EN: 1
; COMPUTE_PGM_RSRC2:TGID_Y_EN: 1
; COMPUTE_PGM_RSRC2:TGID_Z_EN: 0
; COMPUTE_PGM_RSRC2:TIDIG_COMP_CNT: 0
	.section	.text._ZN9rocsolver6v33100L10init_identI19rocblas_complex_numIdEPS3_EEviiT0_iil,"axG",@progbits,_ZN9rocsolver6v33100L10init_identI19rocblas_complex_numIdEPS3_EEviiT0_iil,comdat
	.globl	_ZN9rocsolver6v33100L10init_identI19rocblas_complex_numIdEPS3_EEviiT0_iil ; -- Begin function _ZN9rocsolver6v33100L10init_identI19rocblas_complex_numIdEPS3_EEviiT0_iil
	.p2align	8
	.type	_ZN9rocsolver6v33100L10init_identI19rocblas_complex_numIdEPS3_EEviiT0_iil,@function
_ZN9rocsolver6v33100L10init_identI19rocblas_complex_numIdEPS3_EEviiT0_iil: ; @_ZN9rocsolver6v33100L10init_identI19rocblas_complex_numIdEPS3_EEviiT0_iil
; %bb.0:
	s_clause 0x1
	s_load_b32 s5, s[0:1], 0x2c
	s_load_b64 s[2:3], s[0:1], 0x0
	s_bfe_u32 s7, ttmp6, 0x40010
	s_bfe_u32 s10, ttmp6, 0x4000c
	s_and_b32 s6, ttmp7, 0xffff
	s_add_co_i32 s7, s7, 1
	s_add_co_i32 s10, s10, 1
	s_bfe_u32 s8, ttmp6, 0x40004
	s_and_b32 s9, ttmp6, 15
	s_mul_i32 s7, s6, s7
	s_mul_i32 s10, ttmp9, s10
	s_getreg_b32 s4, hwreg(HW_REG_IB_STS2, 6, 4)
	v_and_b32_e32 v1, 0x3ff, v0
	v_bfe_u32 v0, v0, 10, 10
	s_add_co_i32 s8, s8, s7
	s_add_co_i32 s9, s9, s10
	s_wait_kmcnt 0x0
	s_lshr_b32 s7, s5, 16
	s_and_b32 s5, s5, 0xffff
	s_cmp_eq_u32 s4, 0
	s_cselect_b32 s9, ttmp9, s9
	s_cselect_b32 s6, s6, s8
	v_mad_u32 v2, s9, s5, v1
	v_mad_u32 v0, s6, s7, v0
	s_delay_alu instid0(VALU_DEP_2) | instskip(NEXT) | instid1(VALU_DEP_2)
	v_cmp_gt_u32_e32 vcc_lo, s2, v2
	v_cmp_gt_u32_e64 s2, s3, v0
	s_and_b32 s2, vcc_lo, s2
	s_delay_alu instid0(SALU_CYCLE_1)
	s_and_saveexec_b32 s3, s2
	s_cbranch_execz .LBB19_6
; %bb.1:
	s_load_b64 s[2:3], s[0:1], 0x10
	s_mov_b32 s5, exec_lo
                                        ; implicit-def: $vgpr4
	v_cmpx_ne_u32_e64 v2, v0
	s_xor_b32 s5, exec_lo, s5
	s_cbranch_execz .LBB19_3
; %bb.2:
	s_wait_kmcnt 0x0
	v_mad_u32 v4, v0, s3, v2
                                        ; implicit-def: $vgpr2
.LBB19_3:
	s_or_saveexec_b32 s5, s5
	v_mov_b64_e32 v[0:1], 0
	s_xor_b32 exec_lo, exec_lo, s5
	s_cbranch_execz .LBB19_5
; %bb.4:
	s_wait_kmcnt 0x0
	v_mad_u32 v4, v2, s3, v2
	v_mov_b64_e32 v[0:1], 1.0
.LBB19_5:
	s_or_b32 exec_lo, exec_lo, s5
	s_clause 0x1
	s_load_b64 s[6:7], s[0:1], 0x18
	s_load_b64 s[8:9], s[0:1], 0x8
	s_wait_xcnt 0x0
	s_bfe_u32 s0, ttmp6, 0x40014
	s_lshr_b32 s5, ttmp7, 16
	s_add_co_i32 s0, s0, 1
	s_bfe_u32 s10, ttmp6, 0x40008
	s_mul_i32 s0, s5, s0
	s_wait_kmcnt 0x0
	s_ashr_i32 s3, s2, 31
	s_add_co_i32 s10, s10, s0
	s_cmp_eq_u32 s4, 0
	s_mov_b32 s1, 0
	v_mov_b32_e32 v2, 0
	s_cselect_b32 s0, s5, s10
	s_lshl_b64 s[2:3], s[2:3], 4
	s_delay_alu instid0(VALU_DEP_1) | instskip(SKIP_1) | instid1(SALU_CYCLE_1)
	v_mov_b32_e32 v3, v2
	s_mul_u64 s[0:1], s[6:7], s[0:1]
	s_lshl_b64 s[0:1], s[0:1], 4
	s_delay_alu instid0(SALU_CYCLE_1) | instskip(NEXT) | instid1(SALU_CYCLE_1)
	s_add_nc_u64 s[0:1], s[8:9], s[0:1]
	s_add_nc_u64 s[0:1], s[0:1], s[2:3]
	global_store_b128 v4, v[0:3], s[0:1] scale_offset
.LBB19_6:
	s_endpgm
	.section	.rodata,"a",@progbits
	.p2align	6, 0x0
	.amdhsa_kernel _ZN9rocsolver6v33100L10init_identI19rocblas_complex_numIdEPS3_EEviiT0_iil
		.amdhsa_group_segment_fixed_size 0
		.amdhsa_private_segment_fixed_size 0
		.amdhsa_kernarg_size 288
		.amdhsa_user_sgpr_count 2
		.amdhsa_user_sgpr_dispatch_ptr 0
		.amdhsa_user_sgpr_queue_ptr 0
		.amdhsa_user_sgpr_kernarg_segment_ptr 1
		.amdhsa_user_sgpr_dispatch_id 0
		.amdhsa_user_sgpr_kernarg_preload_length 0
		.amdhsa_user_sgpr_kernarg_preload_offset 0
		.amdhsa_user_sgpr_private_segment_size 0
		.amdhsa_wavefront_size32 1
		.amdhsa_uses_dynamic_stack 0
		.amdhsa_enable_private_segment 0
		.amdhsa_system_sgpr_workgroup_id_x 1
		.amdhsa_system_sgpr_workgroup_id_y 1
		.amdhsa_system_sgpr_workgroup_id_z 1
		.amdhsa_system_sgpr_workgroup_info 0
		.amdhsa_system_vgpr_workitem_id 1
		.amdhsa_next_free_vgpr 5
		.amdhsa_next_free_sgpr 11
		.amdhsa_named_barrier_count 0
		.amdhsa_reserve_vcc 1
		.amdhsa_float_round_mode_32 0
		.amdhsa_float_round_mode_16_64 0
		.amdhsa_float_denorm_mode_32 3
		.amdhsa_float_denorm_mode_16_64 3
		.amdhsa_fp16_overflow 0
		.amdhsa_memory_ordered 1
		.amdhsa_forward_progress 1
		.amdhsa_inst_pref_size 3
		.amdhsa_round_robin_scheduling 0
		.amdhsa_exception_fp_ieee_invalid_op 0
		.amdhsa_exception_fp_denorm_src 0
		.amdhsa_exception_fp_ieee_div_zero 0
		.amdhsa_exception_fp_ieee_overflow 0
		.amdhsa_exception_fp_ieee_underflow 0
		.amdhsa_exception_fp_ieee_inexact 0
		.amdhsa_exception_int_div_zero 0
	.end_amdhsa_kernel
	.section	.text._ZN9rocsolver6v33100L10init_identI19rocblas_complex_numIdEPS3_EEviiT0_iil,"axG",@progbits,_ZN9rocsolver6v33100L10init_identI19rocblas_complex_numIdEPS3_EEviiT0_iil,comdat
.Lfunc_end19:
	.size	_ZN9rocsolver6v33100L10init_identI19rocblas_complex_numIdEPS3_EEviiT0_iil, .Lfunc_end19-_ZN9rocsolver6v33100L10init_identI19rocblas_complex_numIdEPS3_EEviiT0_iil
                                        ; -- End function
	.set _ZN9rocsolver6v33100L10init_identI19rocblas_complex_numIdEPS3_EEviiT0_iil.num_vgpr, 5
	.set _ZN9rocsolver6v33100L10init_identI19rocblas_complex_numIdEPS3_EEviiT0_iil.num_agpr, 0
	.set _ZN9rocsolver6v33100L10init_identI19rocblas_complex_numIdEPS3_EEviiT0_iil.numbered_sgpr, 11
	.set _ZN9rocsolver6v33100L10init_identI19rocblas_complex_numIdEPS3_EEviiT0_iil.num_named_barrier, 0
	.set _ZN9rocsolver6v33100L10init_identI19rocblas_complex_numIdEPS3_EEviiT0_iil.private_seg_size, 0
	.set _ZN9rocsolver6v33100L10init_identI19rocblas_complex_numIdEPS3_EEviiT0_iil.uses_vcc, 1
	.set _ZN9rocsolver6v33100L10init_identI19rocblas_complex_numIdEPS3_EEviiT0_iil.uses_flat_scratch, 0
	.set _ZN9rocsolver6v33100L10init_identI19rocblas_complex_numIdEPS3_EEviiT0_iil.has_dyn_sized_stack, 0
	.set _ZN9rocsolver6v33100L10init_identI19rocblas_complex_numIdEPS3_EEviiT0_iil.has_recursion, 0
	.set _ZN9rocsolver6v33100L10init_identI19rocblas_complex_numIdEPS3_EEviiT0_iil.has_indirect_call, 0
	.section	.AMDGPU.csdata,"",@progbits
; Kernel info:
; codeLenInByte = 380
; TotalNumSgprs: 13
; NumVgprs: 5
; ScratchSize: 0
; MemoryBound: 0
; FloatMode: 240
; IeeeMode: 1
; LDSByteSize: 0 bytes/workgroup (compile time only)
; SGPRBlocks: 0
; VGPRBlocks: 0
; NumSGPRsForWavesPerEU: 13
; NumVGPRsForWavesPerEU: 5
; NamedBarCnt: 0
; Occupancy: 16
; WaveLimiterHint : 0
; COMPUTE_PGM_RSRC2:SCRATCH_EN: 0
; COMPUTE_PGM_RSRC2:USER_SGPR: 2
; COMPUTE_PGM_RSRC2:TRAP_HANDLER: 0
; COMPUTE_PGM_RSRC2:TGID_X_EN: 1
; COMPUTE_PGM_RSRC2:TGID_Y_EN: 1
; COMPUTE_PGM_RSRC2:TGID_Z_EN: 1
; COMPUTE_PGM_RSRC2:TIDIG_COMP_CNT: 1
	.section	.text._ZN9rocsolver6v33100L11lasr_kernelI19rocblas_complex_numIdEdPS3_iEEv13rocblas_side_14rocblas_pivot_15rocblas_direct_T2_S8_PT0_lSA_lT1_lS8_lS8_,"axG",@progbits,_ZN9rocsolver6v33100L11lasr_kernelI19rocblas_complex_numIdEdPS3_iEEv13rocblas_side_14rocblas_pivot_15rocblas_direct_T2_S8_PT0_lSA_lT1_lS8_lS8_,comdat
	.globl	_ZN9rocsolver6v33100L11lasr_kernelI19rocblas_complex_numIdEdPS3_iEEv13rocblas_side_14rocblas_pivot_15rocblas_direct_T2_S8_PT0_lSA_lT1_lS8_lS8_ ; -- Begin function _ZN9rocsolver6v33100L11lasr_kernelI19rocblas_complex_numIdEdPS3_iEEv13rocblas_side_14rocblas_pivot_15rocblas_direct_T2_S8_PT0_lSA_lT1_lS8_lS8_
	.p2align	8
	.type	_ZN9rocsolver6v33100L11lasr_kernelI19rocblas_complex_numIdEdPS3_iEEv13rocblas_side_14rocblas_pivot_15rocblas_direct_T2_S8_PT0_lSA_lT1_lS8_lS8_,@function
_ZN9rocsolver6v33100L11lasr_kernelI19rocblas_complex_numIdEdPS3_iEEv13rocblas_side_14rocblas_pivot_15rocblas_direct_T2_S8_PT0_lSA_lT1_lS8_lS8_: ; @_ZN9rocsolver6v33100L11lasr_kernelI19rocblas_complex_numIdEdPS3_iEEv13rocblas_side_14rocblas_pivot_15rocblas_direct_T2_S8_PT0_lSA_lT1_lS8_lS8_
; %bb.0:
	s_load_b32 s33, s[0:1], 0x58
	s_bfe_u32 s2, ttmp6, 0x40014
	s_lshr_b32 s3, ttmp7, 16
	s_add_co_i32 s2, s2, 1
	s_bfe_u32 s5, ttmp6, 0x40008
	s_mul_i32 s2, s3, s2
	s_getreg_b32 s4, hwreg(HW_REG_IB_STS2, 6, 4)
	s_add_co_i32 s5, s5, s2
	s_cmp_eq_u32 s4, 0
	s_cselect_b32 s2, s3, s5
	s_mov_b32 s3, 0
	s_wait_kmcnt 0x0
	s_cmp_ge_u32 s2, s33
	s_cbranch_scc1 .LBB20_108
; %bb.1:
	s_clause 0x3
	s_load_b32 s20, s[0:1], 0x48
	s_load_b64 s[22:23], s[0:1], 0x68
	s_load_b128 s[16:19], s[0:1], 0x38
	s_load_b128 s[12:15], s[0:1], 0x0
	s_bfe_u32 s5, ttmp6, 0x4000c
	s_and_b32 s6, ttmp6, 15
	s_add_co_i32 s5, s5, 1
	s_load_b32 s24, s[0:1], 0x60
	s_mul_i32 s5, ttmp9, s5
	s_mov_b32 s51, s3
	s_add_co_i32 s6, s6, s5
	s_wait_kmcnt 0x0
	s_ashr_i32 s21, s20, 31
	s_and_b32 s25, s23, 0xffff
	s_cmp_eq_u32 s4, 0
	s_load_b32 s23, s[0:1], 0x10
	s_cselect_b32 s26, ttmp9, s6
	s_lshl_b64 s[48:49], s[18:19], 4
	v_mad_u32 v4, s26, s25, v0
	s_cmp_eq_u32 s12, 0x8d
	s_load_b64 s[18:19], s[0:1], 0x50
	s_cselect_b32 s27, -1, 0
	s_cmp_eq_u32 s12, 0x8e
	s_load_b256 s[4:11], s[0:1], 0x18
	s_cselect_b32 s28, -1, 0
	s_cmp_eq_u32 s13, 0x119
	s_mul_i32 s12, s24, s25
	s_cselect_b32 s29, -1, 0
	s_cmp_eq_u32 s13, 0x11b
	v_ashrrev_i32_e32 v5, 31, v4
	s_wait_xcnt 0x0
	s_cselect_b32 s0, -1, 0
	s_cmp_eq_u32 s13, 0x11a
	s_add_nc_u64 s[24:25], s[16:17], s[48:49]
	s_cselect_b32 s1, -1, 0
	s_cmp_eq_u32 s14, 0xab
	v_mul_u64_e32 v[2:3], s[20:21], v[4:5]
	s_cselect_b32 s13, -1, 0
	s_cmp_eq_u32 s14, 0xac
	v_lshlrev_b64_e32 v[0:1], 4, v[4:5]
	s_cselect_b32 s26, -1, 0
	s_and_b32 s14, s27, s29
	s_and_b32 s30, s27, s1
	;; [unrolled: 1-line block ×5, first 2 shown]
	s_xor_b32 s14, s31, -1
	s_and_b32 s31, s27, s13
	s_and_b32 s29, s28, s29
	;; [unrolled: 1-line block ×4, first 2 shown]
	s_xor_b32 s80, s27, -1
	s_and_b32 s27, s29, s26
	s_and_b32 s30, s30, s26
	s_xor_b32 s82, s27, -1
	s_and_b32 s27, s28, s0
	v_cmp_gt_i32_e64 s0, s15, v4
	s_and_b32 s1, s28, s1
	s_xor_b32 s78, s30, -1
	s_and_b32 s30, s29, s13
	s_and_b32 s29, s1, s13
	;; [unrolled: 1-line block ×4, first 2 shown]
	s_xor_b32 s84, s1, -1
	s_and_b32 s1, s26, s0
	s_wait_kmcnt 0x0
	s_add_co_i32 s26, s23, -1
	s_xor_b32 s76, s34, -1
	s_xor_b32 s77, s35, -1
	;; [unrolled: 1-line block ×6, first 2 shown]
	s_and_b32 s86, s27, s1
	s_ashr_i32 s27, s26, 31
	s_add_co_i32 s34, s23, -2
	s_cmp_gt_i32 s23, 1
	s_mul_u64 s[28:29], s[20:21], s[26:27]
	s_mov_b32 s27, s3
	s_cselect_b32 s87, -1, 0
	s_ashr_i32 s31, s15, 31
	s_add_co_i32 s50, s15, -2
	s_cmp_gt_i32 s15, 1
	s_mul_u64 s[40:41], s[20:21], s[26:27]
	s_mov_b32 s35, s3
	s_cselect_b32 s88, -1, 0
	s_lshl_b64 s[40:41], s[40:41], 4
	s_mul_u64 s[36:37], s[20:21], s[34:35]
	s_add_nc_u64 s[40:41], s[40:41], s[48:49]
	s_lshl_b64 s[36:37], s[36:37], 4
	s_add_nc_u64 s[42:43], s[16:17], s[40:41]
	s_lshl_b64 s[40:41], s[20:21], 4
	s_add_nc_u64 s[36:37], s[36:37], s[48:49]
	s_add_nc_u64 s[46:47], s[48:49], s[40:41]
	;; [unrolled: 1-line block ×4, first 2 shown]
	v_lshl_add_u64 v[2:3], v[2:3], 4, s[48:49]
	v_add_nc_u64_e32 v[6:7], s[36:37], v[0:1]
	v_add_nc_u64_e32 v[10:11], s[24:25], v[0:1]
	;; [unrolled: 1-line block ×4, first 2 shown]
	s_add_co_i32 s46, s15, -1
	s_lshl_b64 s[48:49], s[50:51], 4
	s_mov_b32 s47, s3
	s_add_nc_u64 s[48:49], s[16:17], s[48:49]
	s_lshl_b64 s[52:53], s[46:47], 4
	v_add_nc_u64_e32 v[14:15], s[48:49], v[2:3]
	s_add_nc_u64 s[48:49], s[16:17], s[52:53]
	v_add_nc_u64_e32 v[26:27], s[16:17], v[2:3]
	v_add_nc_u64_e32 v[2:3], s[48:49], v[2:3]
	;; [unrolled: 1-line block ×11, first 2 shown]
	s_ashr_i32 s13, s12, 31
	v_cmp_gt_i32_e64 s1, s23, v4
	v_mov_b32_e32 v5, 0
	s_lshl_b64 s[38:39], s[34:35], 3
	s_lshl_b64 s[48:49], s[50:51], 3
	s_mul_u64 s[50:51], s[20:21], s[12:13]
	s_mov_b32 s30, s15
	s_add_nc_u64 s[34:35], s[4:5], s[38:39]
	s_lshl_b64 s[6:7], s[6:7], 3
	s_add_nc_u64 s[36:37], s[8:9], s[38:39]
	s_lshl_b64 s[10:11], s[10:11], 3
	s_lshl_b64 s[38:39], s[18:19], 4
	;; [unrolled: 1-line block ×3, first 2 shown]
	s_sub_nc_u64 s[44:45], 0, s[40:41]
	s_add_co_i32 s27, s23, 1
	s_add_nc_u64 s[16:17], s[4:5], s[48:49]
	s_add_nc_u64 s[48:49], s[8:9], s[48:49]
	s_lshl_b64 s[50:51], s[50:51], 4
	s_add_co_i32 s13, s15, 1
	s_branch .LBB20_4
.LBB20_2:                               ;   in Loop: Header=BB20_4 Depth=1
	s_or_b32 exec_lo, exec_lo, s47
.LBB20_3:                               ;   in Loop: Header=BB20_4 Depth=1
	s_add_co_i32 s2, s2, s22
	s_delay_alu instid0(SALU_CYCLE_1)
	s_cmp_ge_u32 s2, s33
	s_cbranch_scc1 .LBB20_108
.LBB20_4:                               ; =>This Loop Header: Depth=1
                                        ;     Child Loop BB20_19 Depth 2
                                        ;       Child Loop BB20_20 Depth 3
                                        ;     Child Loop BB20_26 Depth 2
                                        ;       Child Loop BB20_27 Depth 3
	;; [unrolled: 2-line block ×12, first 2 shown]
	s_mul_u64 s[56:57], s[18:19], s[2:3]
	s_mul_u64 s[66:67], s[10:11], s[2:3]
	;; [unrolled: 1-line block ×3, first 2 shown]
	s_lshl_b64 s[56:57], s[56:57], 4
	s_add_nc_u64 s[52:53], s[8:9], s[66:67]
	s_add_nc_u64 s[54:55], s[4:5], s[64:65]
	s_mul_u64 s[58:59], s[38:39], s[2:3]
	s_add_nc_u64 s[56:57], s[24:25], s[56:57]
	s_and_b32 vcc_lo, exec_lo, s14
	s_mov_b32 s47, -1
	s_cbranch_vccnz .LBB20_6
; %bb.5:                                ;   in Loop: Header=BB20_4 Depth=1
	s_and_not1_b32 vcc_lo, exec_lo, s47
	s_cbranch_vccnz .LBB20_3
	s_branch .LBB20_103
.LBB20_6:                               ;   in Loop: Header=BB20_4 Depth=1
	s_add_nc_u64 s[60:61], s[16:17], s[64:65]
	s_add_nc_u64 s[62:63], s[48:49], s[66:67]
	s_and_b32 vcc_lo, exec_lo, s76
	s_cbranch_vccz .LBB20_95
; %bb.7:                                ;   in Loop: Header=BB20_4 Depth=1
	s_and_b32 vcc_lo, exec_lo, s77
	s_cbranch_vccz .LBB20_87
; %bb.8:                                ;   in Loop: Header=BB20_4 Depth=1
	;; [unrolled: 3-line block ×3, first 2 shown]
	s_and_b32 vcc_lo, exec_lo, s79
	s_cbranch_vccz .LBB20_71
; %bb.10:                               ;   in Loop: Header=BB20_4 Depth=1
	s_and_b32 vcc_lo, exec_lo, s80
	s_cbranch_vccz .LBB20_63
; %bb.11:                               ;   in Loop: Header=BB20_4 Depth=1
	v_add_nc_u64_e32 v[28:29], s[58:59], v[10:11]
	s_and_b32 vcc_lo, exec_lo, s81
	s_cbranch_vccz .LBB20_55
; %bb.12:                               ;   in Loop: Header=BB20_4 Depth=1
	v_add_nc_u64_e32 v[30:31], s[58:59], v[12:13]
	s_add_nc_u64 s[64:65], s[34:35], s[64:65]
	s_add_nc_u64 s[66:67], s[36:37], s[66:67]
	s_and_b32 vcc_lo, exec_lo, s82
	s_cbranch_vccz .LBB20_46
; %bb.13:                               ;   in Loop: Header=BB20_4 Depth=1
	s_and_b32 vcc_lo, exec_lo, s83
	s_cbranch_vccz .LBB20_38
; %bb.14:                               ;   in Loop: Header=BB20_4 Depth=1
	;; [unrolled: 3-line block ×4, first 2 shown]
	s_and_saveexec_b32 s47, s86
	s_cbranch_execz .LBB20_21
; %bb.17:                               ;   in Loop: Header=BB20_4 Depth=1
	v_add_nc_u64_e32 v[32:33], s[58:59], v[8:9]
	v_mov_b32_e32 v34, v4
	s_lshl_b64 s[68:69], s[28:29], 4
	s_mov_b32 s74, 0
	s_add_nc_u64 s[68:69], s[56:57], s[68:69]
	s_branch .LBB20_19
.LBB20_18:                              ;   in Loop: Header=BB20_19 Depth=2
	v_ashrrev_i32_e32 v35, 31, v34
	v_add_nc_u64_e32 v[32:33], s[42:43], v[32:33]
	s_delay_alu instid0(VALU_DEP_2)
	v_lshl_add_u64 v[36:37], v[34:35], 4, s[68:69]
	s_wait_xcnt 0x0
	v_add_nc_u32_e32 v34, s12, v34
	s_wait_loadcnt 0x0
	global_store_b128 v[36:37], v[0:3], off
	v_cmp_le_i32_e32 vcc_lo, s15, v34
	s_or_b32 s74, vcc_lo, s74
	s_wait_xcnt 0x0
	s_and_not1_b32 exec_lo, exec_lo, s74
	s_cbranch_execz .LBB20_21
.LBB20_19:                              ;   Parent Loop BB20_4 Depth=1
                                        ; =>  This Loop Header: Depth=2
                                        ;       Child Loop BB20_20 Depth 3
	global_load_b128 v[0:3], v34, s[68:69] scale_offset
	v_mov_b64_e32 v[36:37], v[32:33]
	s_and_not1_b32 vcc_lo, exec_lo, s87
	s_mov_b64 s[70:71], s[66:67]
	s_mov_b64 s[72:73], s[64:65]
	s_mov_b32 s75, s26
	s_cbranch_vccnz .LBB20_18
.LBB20_20:                              ;   Parent Loop BB20_4 Depth=1
                                        ;     Parent Loop BB20_19 Depth=2
                                        ; =>    This Inner Loop Header: Depth=3
	global_load_b128 v[38:41], v[36:37], off offset:-8
	s_clause 0x1
	global_load_b64 v[46:47], v5, s[72:73]
	global_load_b64 v[48:49], v5, s[70:71]
	s_add_co_i32 s75, s75, -1
	s_wait_xcnt 0x1
	s_add_nc_u64 s[72:73], s[72:73], -8
	s_cmp_eq_u32 s75, 0
	s_wait_xcnt 0x0
	s_add_nc_u64 s[70:71], s[70:71], -8
	s_wait_loadcnt 0x1
	v_mul_f64_e32 v[42:43], v[46:47], v[38:39]
	v_mul_f64_e32 v[44:45], v[46:47], v[40:41]
	s_wait_loadcnt 0x0
	v_mul_f64_e32 v[38:39], v[48:49], v[38:39]
	v_mul_f64_e32 v[40:41], v[48:49], v[40:41]
	s_delay_alu instid0(VALU_DEP_4) | instskip(NEXT) | instid1(VALU_DEP_4)
	v_fmac_f64_e32 v[42:43], v[0:1], v[48:49]
	v_fmac_f64_e32 v[44:45], v[2:3], v[48:49]
	s_delay_alu instid0(VALU_DEP_4) | instskip(NEXT) | instid1(VALU_DEP_4)
	v_fma_f64 v[0:1], v[0:1], v[46:47], -v[38:39]
	v_fma_f64 v[2:3], v[2:3], v[46:47], -v[40:41]
	global_store_b128 v[36:37], v[42:45], off offset:-8
	s_wait_xcnt 0x0
	v_add_nc_u64_e32 v[36:37], s[44:45], v[36:37]
	s_cbranch_scc0 .LBB20_20
	s_branch .LBB20_18
.LBB20_21:                              ;   in Loop: Header=BB20_4 Depth=1
	s_or_b32 exec_lo, exec_lo, s47
	s_mov_b32 s47, 0
.LBB20_22:                              ;   in Loop: Header=BB20_4 Depth=1
	s_delay_alu instid0(SALU_CYCLE_1)
	s_and_not1_b32 vcc_lo, exec_lo, s47
	s_cbranch_vccnz .LBB20_29
; %bb.23:                               ;   in Loop: Header=BB20_4 Depth=1
	s_and_saveexec_b32 s47, s0
	s_cbranch_execz .LBB20_28
; %bb.24:                               ;   in Loop: Header=BB20_4 Depth=1
	v_mov_b64_e32 v[32:33], v[28:29]
	v_mov_b32_e32 v34, v4
	s_lshl_b64 s[68:69], s[28:29], 4
	s_mov_b32 s74, 0
	s_add_nc_u64 s[68:69], s[56:57], s[68:69]
	s_branch .LBB20_26
.LBB20_25:                              ;   in Loop: Header=BB20_26 Depth=2
	v_ashrrev_i32_e32 v35, 31, v34
	v_add_nc_u64_e32 v[32:33], s[42:43], v[32:33]
	s_delay_alu instid0(VALU_DEP_2)
	v_lshl_add_u64 v[36:37], v[34:35], 4, s[68:69]
	s_wait_xcnt 0x0
	v_add_nc_u32_e32 v34, s12, v34
	s_wait_loadcnt 0x0
	global_store_b128 v[36:37], v[0:3], off
	v_cmp_le_i32_e32 vcc_lo, s15, v34
	s_or_b32 s74, vcc_lo, s74
	s_wait_xcnt 0x0
	s_and_not1_b32 exec_lo, exec_lo, s74
	s_cbranch_execz .LBB20_28
.LBB20_26:                              ;   Parent Loop BB20_4 Depth=1
                                        ; =>  This Loop Header: Depth=2
                                        ;       Child Loop BB20_27 Depth 3
	global_load_b128 v[0:3], v34, s[68:69] scale_offset
	v_mov_b64_e32 v[36:37], v[32:33]
	s_and_not1_b32 vcc_lo, exec_lo, s87
	s_mov_b64 s[70:71], s[52:53]
	s_mov_b64 s[72:73], s[54:55]
	s_mov_b32 s75, s26
	s_cbranch_vccnz .LBB20_25
.LBB20_27:                              ;   Parent Loop BB20_4 Depth=1
                                        ;     Parent Loop BB20_26 Depth=2
                                        ; =>    This Inner Loop Header: Depth=3
	global_load_b128 v[38:41], v[36:37], off offset:-8
	s_clause 0x1
	global_load_b64 v[46:47], v5, s[72:73]
	global_load_b64 v[48:49], v5, s[70:71]
	s_add_co_i32 s75, s75, -1
	s_wait_xcnt 0x1
	s_add_nc_u64 s[72:73], s[72:73], 8
	s_cmp_eq_u32 s75, 0
	s_wait_xcnt 0x0
	s_add_nc_u64 s[70:71], s[70:71], 8
	s_wait_loadcnt 0x1
	v_mul_f64_e32 v[42:43], v[46:47], v[38:39]
	v_mul_f64_e32 v[44:45], v[46:47], v[40:41]
	s_wait_loadcnt 0x0
	v_mul_f64_e32 v[38:39], v[48:49], v[38:39]
	v_mul_f64_e32 v[40:41], v[48:49], v[40:41]
	s_delay_alu instid0(VALU_DEP_4) | instskip(NEXT) | instid1(VALU_DEP_4)
	v_fmac_f64_e32 v[42:43], v[0:1], v[48:49]
	v_fmac_f64_e32 v[44:45], v[2:3], v[48:49]
	s_delay_alu instid0(VALU_DEP_4) | instskip(NEXT) | instid1(VALU_DEP_4)
	v_fma_f64 v[0:1], v[0:1], v[46:47], -v[38:39]
	v_fma_f64 v[2:3], v[2:3], v[46:47], -v[40:41]
	global_store_b128 v[36:37], v[42:45], off offset:-8
	s_wait_xcnt 0x0
	v_add_nc_u64_e32 v[36:37], s[40:41], v[36:37]
	s_cbranch_scc0 .LBB20_27
	s_branch .LBB20_25
.LBB20_28:                              ;   in Loop: Header=BB20_4 Depth=1
	s_or_b32 exec_lo, exec_lo, s47
.LBB20_29:                              ;   in Loop: Header=BB20_4 Depth=1
	s_mov_b32 s47, 0
.LBB20_30:                              ;   in Loop: Header=BB20_4 Depth=1
	s_delay_alu instid0(SALU_CYCLE_1)
	s_and_not1_b32 vcc_lo, exec_lo, s47
	s_cbranch_vccnz .LBB20_37
; %bb.31:                               ;   in Loop: Header=BB20_4 Depth=1
	s_and_saveexec_b32 s47, s0
	s_cbranch_execz .LBB20_36
; %bb.32:                               ;   in Loop: Header=BB20_4 Depth=1
	v_mov_b64_e32 v[32:33], v[30:31]
	v_mov_b32_e32 v34, v4
	s_mov_b32 s72, 0
	s_branch .LBB20_34
.LBB20_33:                              ;   in Loop: Header=BB20_34 Depth=2
	v_ashrrev_i32_e32 v35, 31, v34
	v_add_nc_u64_e32 v[32:33], s[42:43], v[32:33]
	s_delay_alu instid0(VALU_DEP_2)
	v_lshl_add_u64 v[36:37], v[34:35], 4, s[56:57]
	s_wait_xcnt 0x0
	v_add_nc_u32_e32 v34, s12, v34
	s_wait_loadcnt 0x0
	global_store_b128 v[36:37], v[0:3], off
	v_cmp_le_i32_e32 vcc_lo, s15, v34
	s_or_b32 s72, vcc_lo, s72
	s_wait_xcnt 0x0
	s_and_not1_b32 exec_lo, exec_lo, s72
	s_cbranch_execz .LBB20_36
.LBB20_34:                              ;   Parent Loop BB20_4 Depth=1
                                        ; =>  This Loop Header: Depth=2
                                        ;       Child Loop BB20_35 Depth 3
	global_load_b128 v[0:3], v34, s[56:57] scale_offset
	v_mov_b64_e32 v[36:37], v[32:33]
	s_and_not1_b32 vcc_lo, exec_lo, s87
	s_mov_b64 s[68:69], s[66:67]
	s_mov_b64 s[70:71], s[64:65]
	s_mov_b32 s73, s27
	s_cbranch_vccnz .LBB20_33
.LBB20_35:                              ;   Parent Loop BB20_4 Depth=1
                                        ;     Parent Loop BB20_34 Depth=2
                                        ; =>    This Inner Loop Header: Depth=3
	s_clause 0x1
	global_load_b64 v[42:43], v5, s[68:69]
	global_load_b64 v[44:45], v5, s[70:71]
	global_load_b128 v[38:41], v[36:37], off offset:-8
	s_wait_loadcnt 0x3
	v_mov_b64_e32 v[46:47], v[0:1]
	v_mov_b64_e32 v[48:49], v[2:3]
	s_add_co_i32 s73, s73, -1
	s_wait_xcnt 0x1
	s_add_nc_u64 s[70:71], s[70:71], -8
	s_cmp_lt_u32 s73, 3
	s_add_nc_u64 s[68:69], s[68:69], -8
	s_wait_loadcnt 0x2
	v_mul_f64_e32 v[50:51], v[46:47], v[42:43]
	v_mul_f64_e32 v[52:53], v[48:49], v[42:43]
	s_wait_loadcnt 0x0
	v_mul_f64_e32 v[0:1], v[42:43], v[38:39]
	v_mul_f64_e32 v[2:3], v[42:43], v[40:41]
	s_delay_alu instid0(VALU_DEP_4) | instskip(NEXT) | instid1(VALU_DEP_4)
	v_fma_f64 v[38:39], v[44:45], v[38:39], -v[50:51]
	v_fma_f64 v[40:41], v[44:45], v[40:41], -v[52:53]
	s_delay_alu instid0(VALU_DEP_4) | instskip(NEXT) | instid1(VALU_DEP_4)
	v_fmac_f64_e32 v[0:1], v[46:47], v[44:45]
	v_fmac_f64_e32 v[2:3], v[48:49], v[44:45]
	global_store_b128 v[36:37], v[38:41], off offset:-8
	s_wait_xcnt 0x0
	v_add_nc_u64_e32 v[36:37], s[44:45], v[36:37]
	s_cbranch_scc0 .LBB20_35
	s_branch .LBB20_33
.LBB20_36:                              ;   in Loop: Header=BB20_4 Depth=1
	s_or_b32 exec_lo, exec_lo, s47
.LBB20_37:                              ;   in Loop: Header=BB20_4 Depth=1
	s_mov_b32 s47, 0
.LBB20_38:                              ;   in Loop: Header=BB20_4 Depth=1
	s_delay_alu instid0(SALU_CYCLE_1)
	s_and_not1_b32 vcc_lo, exec_lo, s47
	s_cbranch_vccnz .LBB20_45
; %bb.39:                               ;   in Loop: Header=BB20_4 Depth=1
	s_and_saveexec_b32 s47, s0
	s_cbranch_execz .LBB20_44
; %bb.40:                               ;   in Loop: Header=BB20_4 Depth=1
	v_add_nc_u64_e32 v[32:33], s[58:59], v[16:17]
	v_mov_b32_e32 v34, v4
	s_mov_b32 s72, 0
	s_branch .LBB20_42
.LBB20_41:                              ;   in Loop: Header=BB20_42 Depth=2
	v_ashrrev_i32_e32 v35, 31, v34
	v_add_nc_u64_e32 v[32:33], s[42:43], v[32:33]
	s_delay_alu instid0(VALU_DEP_2)
	v_lshl_add_u64 v[36:37], v[34:35], 4, s[56:57]
	s_wait_xcnt 0x0
	v_add_nc_u32_e32 v34, s12, v34
	s_wait_loadcnt 0x0
	global_store_b128 v[36:37], v[0:3], off
	v_cmp_le_i32_e32 vcc_lo, s15, v34
	s_or_b32 s72, vcc_lo, s72
	s_wait_xcnt 0x0
	s_and_not1_b32 exec_lo, exec_lo, s72
	s_cbranch_execz .LBB20_44
.LBB20_42:                              ;   Parent Loop BB20_4 Depth=1
                                        ; =>  This Loop Header: Depth=2
                                        ;       Child Loop BB20_43 Depth 3
	global_load_b128 v[0:3], v34, s[56:57] scale_offset
	v_mov_b64_e32 v[36:37], v[32:33]
	s_and_not1_b32 vcc_lo, exec_lo, s87
	s_mov_b32 s73, s26
	s_mov_b64 s[68:69], s[54:55]
	s_mov_b64 s[70:71], s[52:53]
	s_cbranch_vccnz .LBB20_41
.LBB20_43:                              ;   Parent Loop BB20_4 Depth=1
                                        ;     Parent Loop BB20_42 Depth=2
                                        ; =>    This Inner Loop Header: Depth=3
	s_clause 0x1
	global_load_b64 v[42:43], v5, s[70:71]
	global_load_b64 v[44:45], v5, s[68:69]
	global_load_b128 v[38:41], v[36:37], off offset:-8
	s_wait_loadcnt 0x3
	v_mov_b64_e32 v[46:47], v[0:1]
	v_mov_b64_e32 v[48:49], v[2:3]
	s_add_co_i32 s73, s73, -1
	s_wait_xcnt 0x2
	s_add_nc_u64 s[70:71], s[70:71], 8
	s_cmp_eq_u32 s73, 0
	s_wait_xcnt 0x1
	s_add_nc_u64 s[68:69], s[68:69], 8
	s_wait_loadcnt 0x2
	v_mul_f64_e32 v[50:51], v[46:47], v[42:43]
	v_mul_f64_e32 v[52:53], v[48:49], v[42:43]
	s_wait_loadcnt 0x0
	v_mul_f64_e32 v[0:1], v[42:43], v[38:39]
	v_mul_f64_e32 v[2:3], v[42:43], v[40:41]
	s_delay_alu instid0(VALU_DEP_4) | instskip(NEXT) | instid1(VALU_DEP_4)
	v_fma_f64 v[38:39], v[44:45], v[38:39], -v[50:51]
	v_fma_f64 v[40:41], v[44:45], v[40:41], -v[52:53]
	s_delay_alu instid0(VALU_DEP_4) | instskip(NEXT) | instid1(VALU_DEP_4)
	v_fmac_f64_e32 v[0:1], v[46:47], v[44:45]
	v_fmac_f64_e32 v[2:3], v[48:49], v[44:45]
	global_store_b128 v[36:37], v[38:41], off offset:-8
	s_wait_xcnt 0x0
	v_add_nc_u64_e32 v[36:37], s[40:41], v[36:37]
	s_cbranch_scc0 .LBB20_43
	s_branch .LBB20_41
.LBB20_44:                              ;   in Loop: Header=BB20_4 Depth=1
	s_or_b32 exec_lo, exec_lo, s47
.LBB20_45:                              ;   in Loop: Header=BB20_4 Depth=1
	s_mov_b32 s47, 0
.LBB20_46:                              ;   in Loop: Header=BB20_4 Depth=1
	s_delay_alu instid0(SALU_CYCLE_1)
	s_and_not1_b32 vcc_lo, exec_lo, s47
	s_cbranch_vccnz .LBB20_54
; %bb.47:                               ;   in Loop: Header=BB20_4 Depth=1
	s_and_saveexec_b32 s47, s0
	s_cbranch_execz .LBB20_53
; %bb.48:                               ;   in Loop: Header=BB20_4 Depth=1
	v_add_nc_u64_e32 v[32:33], s[58:59], v[6:7]
	v_mov_b32_e32 v34, v4
	s_lshl_b64 s[68:69], s[28:29], 4
	s_mov_b32 s89, 0
	s_add_nc_u64 s[68:69], s[56:57], s[68:69]
	s_branch .LBB20_50
.LBB20_49:                              ;   in Loop: Header=BB20_50 Depth=2
	v_ashrrev_i32_e32 v35, 31, v34
	v_add_nc_u64_e32 v[32:33], s[42:43], v[32:33]
	v_add_nc_u64_e32 v[30:31], s[42:43], v[30:31]
	s_wait_xcnt 0x0
	s_delay_alu instid0(VALU_DEP_3)
	v_lshl_add_u64 v[36:37], v[34:35], 4, s[56:57]
	v_add_nc_u32_e32 v34, s12, v34
	s_wait_loadcnt 0x0
	global_store_b128 v[36:37], v[0:3], off
	v_cmp_le_i32_e32 vcc_lo, s15, v34
	s_or_b32 s89, vcc_lo, s89
	s_wait_xcnt 0x0
	s_and_not1_b32 exec_lo, exec_lo, s89
	s_cbranch_execz .LBB20_53
.LBB20_50:                              ;   Parent Loop BB20_4 Depth=1
                                        ; =>  This Loop Header: Depth=2
                                        ;       Child Loop BB20_52 Depth 3
	global_load_b128 v[0:3], v34, s[68:69] scale_offset
	s_and_not1_b32 vcc_lo, exec_lo, s87
	s_cbranch_vccnz .LBB20_49
; %bb.51:                               ;   in Loop: Header=BB20_50 Depth=2
	s_mov_b64 s[70:71], 0
	s_mov_b64 s[72:73], s[66:67]
	;; [unrolled: 1-line block ×3, first 2 shown]
	s_mov_b32 s90, s26
.LBB20_52:                              ;   Parent Loop BB20_4 Depth=1
                                        ;     Parent Loop BB20_50 Depth=2
                                        ; =>    This Inner Loop Header: Depth=3
	s_wait_xcnt 0x0
	v_add_nc_u64_e32 v[36:37], s[70:71], v[32:33]
	s_wait_loadcnt 0x0
	v_mov_b64_e32 v[44:45], v[2:3]
	v_mov_b64_e32 v[46:47], v[0:1]
	s_add_co_i32 s90, s90, -1
	s_clause 0x1
	global_load_b64 v[40:41], v5, s[74:75]
	global_load_b64 v[42:43], v5, s[72:73]
	global_load_b128 v[36:39], v[36:37], off
	s_wait_xcnt 0x2
	s_add_nc_u64 s[74:75], s[74:75], -8
	s_cmp_eq_u32 s90, 0
	s_wait_xcnt 0x1
	s_add_nc_u64 s[72:73], s[72:73], -8
	s_wait_loadcnt 0x0
	v_mul_f64_e32 v[48:49], v[42:43], v[36:37]
	v_mul_f64_e32 v[50:51], v[42:43], v[38:39]
	;; [unrolled: 1-line block ×4, first 2 shown]
	s_wait_xcnt 0x0
	s_delay_alu instid0(VALU_DEP_4) | instskip(NEXT) | instid1(VALU_DEP_4)
	v_fma_f64 v[36:37], v[46:47], v[40:41], -v[48:49]
	v_fma_f64 v[38:39], v[44:45], v[40:41], -v[50:51]
	s_delay_alu instid0(VALU_DEP_4) | instskip(NEXT) | instid1(VALU_DEP_4)
	v_fmac_f64_e32 v[0:1], v[46:47], v[42:43]
	v_fmac_f64_e32 v[2:3], v[44:45], v[42:43]
	v_add_nc_u64_e32 v[40:41], s[70:71], v[30:31]
	s_sub_nc_u64 s[70:71], s[70:71], s[40:41]
	global_store_b128 v[40:41], v[36:39], off offset:-8
	s_cbranch_scc0 .LBB20_52
	s_branch .LBB20_49
.LBB20_53:                              ;   in Loop: Header=BB20_4 Depth=1
	s_or_b32 exec_lo, exec_lo, s47
.LBB20_54:                              ;   in Loop: Header=BB20_4 Depth=1
	s_mov_b32 s47, 0
.LBB20_55:                              ;   in Loop: Header=BB20_4 Depth=1
	s_delay_alu instid0(SALU_CYCLE_1)
	s_and_not1_b32 vcc_lo, exec_lo, s47
	s_cbranch_vccnz .LBB20_62
; %bb.56:                               ;   in Loop: Header=BB20_4 Depth=1
	s_and_saveexec_b32 s47, s0
	s_cbranch_execz .LBB20_61
; %bb.57:                               ;   in Loop: Header=BB20_4 Depth=1
	v_mov_b32_e32 v30, v4
	s_lshl_b64 s[64:65], s[28:29], 4
	s_mov_b32 s70, 0
	s_add_nc_u64 s[64:65], s[56:57], s[64:65]
	s_branch .LBB20_59
.LBB20_58:                              ;   in Loop: Header=BB20_59 Depth=2
	v_ashrrev_i32_e32 v31, 31, v30
	v_add_nc_u64_e32 v[28:29], s[42:43], v[28:29]
	s_delay_alu instid0(VALU_DEP_2)
	v_lshl_add_u64 v[32:33], v[30:31], 4, s[64:65]
	s_wait_xcnt 0x0
	v_add_nc_u32_e32 v30, s12, v30
	s_wait_loadcnt 0x0
	global_store_b128 v[32:33], v[0:3], off
	v_cmp_le_i32_e32 vcc_lo, s15, v30
	s_or_b32 s70, vcc_lo, s70
	s_wait_xcnt 0x0
	s_and_not1_b32 exec_lo, exec_lo, s70
	s_cbranch_execz .LBB20_61
.LBB20_59:                              ;   Parent Loop BB20_4 Depth=1
                                        ; =>  This Loop Header: Depth=2
                                        ;       Child Loop BB20_60 Depth 3
	global_load_b128 v[0:3], v30, s[56:57] scale_offset
	v_mov_b64_e32 v[32:33], v[28:29]
	s_and_not1_b32 vcc_lo, exec_lo, s87
	s_mov_b64 s[66:67], s[52:53]
	s_mov_b64 s[68:69], s[54:55]
	s_mov_b32 s71, s26
	s_cbranch_vccnz .LBB20_58
.LBB20_60:                              ;   Parent Loop BB20_4 Depth=1
                                        ;     Parent Loop BB20_59 Depth=2
                                        ; =>    This Inner Loop Header: Depth=3
	s_delay_alu instid0(VALU_DEP_1)
	v_add_nc_u64_e32 v[42:43], s[40:41], v[32:33]
	s_add_co_i32 s71, s71, -1
	global_load_b128 v[34:37], v[42:43], off offset:-8
	s_clause 0x1
	global_load_b64 v[44:45], v5, s[66:67]
	global_load_b64 v[46:47], v5, s[68:69]
	s_wait_xcnt 0x0
	s_add_nc_u64 s[68:69], s[68:69], 8
	s_cmp_eq_u32 s71, 0
	s_add_nc_u64 s[66:67], s[66:67], 8
	s_wait_loadcnt 0x1
	v_mul_f64_e32 v[38:39], v[44:45], v[34:35]
	v_mul_f64_e32 v[40:41], v[44:45], v[36:37]
	;; [unrolled: 1-line block ×4, first 2 shown]
	s_wait_loadcnt 0x0
	s_delay_alu instid0(VALU_DEP_4) | instskip(NEXT) | instid1(VALU_DEP_4)
	v_fmac_f64_e32 v[38:39], v[0:1], v[46:47]
	v_fmac_f64_e32 v[40:41], v[2:3], v[46:47]
	s_delay_alu instid0(VALU_DEP_4) | instskip(NEXT) | instid1(VALU_DEP_4)
	v_fma_f64 v[0:1], v[46:47], v[34:35], -v[48:49]
	v_fma_f64 v[2:3], v[46:47], v[36:37], -v[44:45]
	global_store_b128 v[32:33], v[38:41], off offset:-8
	s_wait_xcnt 0x0
	v_mov_b64_e32 v[32:33], v[42:43]
	s_cbranch_scc0 .LBB20_60
	s_branch .LBB20_58
.LBB20_61:                              ;   in Loop: Header=BB20_4 Depth=1
	s_or_b32 exec_lo, exec_lo, s47
.LBB20_62:                              ;   in Loop: Header=BB20_4 Depth=1
	s_mov_b32 s47, 0
.LBB20_63:                              ;   in Loop: Header=BB20_4 Depth=1
	s_delay_alu instid0(SALU_CYCLE_1)
	s_and_not1_b32 vcc_lo, exec_lo, s47
	s_cbranch_vccnz .LBB20_70
; %bb.64:                               ;   in Loop: Header=BB20_4 Depth=1
	s_and_saveexec_b32 s47, s1
	s_cbranch_execz .LBB20_69
; %bb.65:                               ;   in Loop: Header=BB20_4 Depth=1
	v_add_nc_u64_e32 v[28:29], s[58:59], v[18:19]
	v_mov_b32_e32 v30, v4
	s_lshl_b64 s[64:65], s[30:31], 4
	s_mov_b32 s70, 0
	s_add_nc_u64 s[64:65], s[56:57], s[64:65]
	s_branch .LBB20_67
.LBB20_66:                              ;   in Loop: Header=BB20_67 Depth=2
	v_add_nc_u32_e32 v30, s12, v30
	v_add_nc_u64_e32 v[28:29], s[50:51], v[28:29]
	s_wait_loadcnt 0x0
	global_store_b128 v[32:33], v[0:3], off offset:-16
	v_cmp_le_i32_e32 vcc_lo, s23, v30
	s_or_b32 s70, vcc_lo, s70
	s_wait_xcnt 0x0
	s_and_not1_b32 exec_lo, exec_lo, s70
	s_cbranch_execz .LBB20_69
.LBB20_67:                              ;   Parent Loop BB20_4 Depth=1
                                        ; =>  This Loop Header: Depth=2
                                        ;       Child Loop BB20_68 Depth 3
	v_ashrrev_i32_e32 v31, 31, v30
	v_mov_b64_e32 v[34:35], v[28:29]
	s_and_not1_b32 vcc_lo, exec_lo, s88
	s_mov_b64 s[66:67], s[62:63]
	s_mov_b64 s[68:69], s[60:61]
	v_mul_u64_e32 v[0:1], s[20:21], v[30:31]
	s_mov_b32 s71, s46
	s_delay_alu instid0(VALU_DEP_1)
	v_lshl_add_u64 v[32:33], v[0:1], 4, s[64:65]
	global_load_b128 v[0:3], v[32:33], off offset:-16
	s_cbranch_vccnz .LBB20_66
.LBB20_68:                              ;   Parent Loop BB20_4 Depth=1
                                        ;     Parent Loop BB20_67 Depth=2
                                        ; =>    This Inner Loop Header: Depth=3
	global_load_b128 v[36:39], v[34:35], off offset:-8
	s_clause 0x1
	global_load_b64 v[44:45], v5, s[68:69]
	global_load_b64 v[46:47], v5, s[66:67]
	s_add_co_i32 s71, s71, -1
	s_wait_xcnt 0x1
	s_add_nc_u64 s[68:69], s[68:69], -8
	s_cmp_eq_u32 s71, 0
	s_wait_xcnt 0x0
	s_add_nc_u64 s[66:67], s[66:67], -8
	s_wait_loadcnt 0x1
	v_mul_f64_e32 v[40:41], v[44:45], v[36:37]
	v_mul_f64_e32 v[42:43], v[44:45], v[38:39]
	s_wait_loadcnt 0x0
	v_mul_f64_e32 v[36:37], v[46:47], v[36:37]
	v_mul_f64_e32 v[38:39], v[46:47], v[38:39]
	s_delay_alu instid0(VALU_DEP_4) | instskip(NEXT) | instid1(VALU_DEP_4)
	v_fmac_f64_e32 v[40:41], v[0:1], v[46:47]
	v_fmac_f64_e32 v[42:43], v[2:3], v[46:47]
	s_delay_alu instid0(VALU_DEP_4) | instskip(NEXT) | instid1(VALU_DEP_4)
	v_fma_f64 v[0:1], v[0:1], v[44:45], -v[36:37]
	v_fma_f64 v[2:3], v[2:3], v[44:45], -v[38:39]
	global_store_b128 v[34:35], v[40:43], off offset:-8
	s_wait_xcnt 0x0
	v_add_nc_u64_e32 v[34:35], -16, v[34:35]
	s_cbranch_scc0 .LBB20_68
	s_branch .LBB20_66
.LBB20_69:                              ;   in Loop: Header=BB20_4 Depth=1
	s_or_b32 exec_lo, exec_lo, s47
.LBB20_70:                              ;   in Loop: Header=BB20_4 Depth=1
	s_mov_b32 s47, 0
.LBB20_71:                              ;   in Loop: Header=BB20_4 Depth=1
	s_delay_alu instid0(SALU_CYCLE_1)
	s_and_not1_b32 vcc_lo, exec_lo, s47
	s_cbranch_vccnz .LBB20_78
; %bb.72:                               ;   in Loop: Header=BB20_4 Depth=1
	s_and_saveexec_b32 s47, s1
	s_cbranch_execz .LBB20_77
; %bb.73:                               ;   in Loop: Header=BB20_4 Depth=1
	v_add_nc_u64_e32 v[28:29], s[58:59], v[20:21]
	v_mov_b32_e32 v30, v4
	s_lshl_b64 s[64:65], s[30:31], 4
	s_mov_b32 s70, 0
	s_add_nc_u64 s[64:65], s[56:57], s[64:65]
	s_branch .LBB20_75
.LBB20_74:                              ;   in Loop: Header=BB20_75 Depth=2
	v_add_nc_u32_e32 v30, s12, v30
	v_add_nc_u64_e32 v[28:29], s[50:51], v[28:29]
	s_wait_loadcnt 0x0
	global_store_b128 v[32:33], v[0:3], off offset:-16
	v_cmp_le_i32_e32 vcc_lo, s23, v30
	s_or_b32 s70, vcc_lo, s70
	s_wait_xcnt 0x0
	s_and_not1_b32 exec_lo, exec_lo, s70
	s_cbranch_execz .LBB20_77
.LBB20_75:                              ;   Parent Loop BB20_4 Depth=1
                                        ; =>  This Loop Header: Depth=2
                                        ;       Child Loop BB20_76 Depth 3
	v_ashrrev_i32_e32 v31, 31, v30
	v_mov_b64_e32 v[34:35], v[28:29]
	s_and_not1_b32 vcc_lo, exec_lo, s88
	s_mov_b64 s[66:67], s[52:53]
	s_mov_b64 s[68:69], s[54:55]
	v_mul_u64_e32 v[0:1], s[20:21], v[30:31]
	s_mov_b32 s71, s46
	s_delay_alu instid0(VALU_DEP_1)
	v_lshl_add_u64 v[32:33], v[0:1], 4, s[64:65]
	global_load_b128 v[0:3], v[32:33], off offset:-16
	s_cbranch_vccnz .LBB20_74
.LBB20_76:                              ;   Parent Loop BB20_4 Depth=1
                                        ;     Parent Loop BB20_75 Depth=2
                                        ; =>    This Inner Loop Header: Depth=3
	global_load_b128 v[36:39], v[34:35], off offset:-8
	s_clause 0x1
	global_load_b64 v[44:45], v5, s[68:69]
	global_load_b64 v[46:47], v5, s[66:67]
	s_add_co_i32 s71, s71, -1
	s_wait_xcnt 0x1
	s_add_nc_u64 s[68:69], s[68:69], 8
	s_cmp_eq_u32 s71, 0
	s_wait_xcnt 0x0
	s_add_nc_u64 s[66:67], s[66:67], 8
	s_wait_loadcnt 0x1
	v_mul_f64_e32 v[40:41], v[44:45], v[36:37]
	v_mul_f64_e32 v[42:43], v[44:45], v[38:39]
	s_wait_loadcnt 0x0
	v_mul_f64_e32 v[36:37], v[46:47], v[36:37]
	v_mul_f64_e32 v[38:39], v[46:47], v[38:39]
	s_delay_alu instid0(VALU_DEP_4) | instskip(NEXT) | instid1(VALU_DEP_4)
	v_fmac_f64_e32 v[40:41], v[0:1], v[46:47]
	v_fmac_f64_e32 v[42:43], v[2:3], v[46:47]
	s_delay_alu instid0(VALU_DEP_4) | instskip(NEXT) | instid1(VALU_DEP_4)
	v_fma_f64 v[0:1], v[0:1], v[44:45], -v[36:37]
	v_fma_f64 v[2:3], v[2:3], v[44:45], -v[38:39]
	global_store_b128 v[34:35], v[40:43], off offset:-8
	s_wait_xcnt 0x0
	v_add_nc_u64_e32 v[34:35], 16, v[34:35]
	s_cbranch_scc0 .LBB20_76
	s_branch .LBB20_74
.LBB20_77:                              ;   in Loop: Header=BB20_4 Depth=1
	s_or_b32 exec_lo, exec_lo, s47
.LBB20_78:                              ;   in Loop: Header=BB20_4 Depth=1
	s_mov_b32 s47, 0
.LBB20_79:                              ;   in Loop: Header=BB20_4 Depth=1
	s_delay_alu instid0(SALU_CYCLE_1)
	s_and_not1_b32 vcc_lo, exec_lo, s47
	s_cbranch_vccnz .LBB20_86
; %bb.80:                               ;   in Loop: Header=BB20_4 Depth=1
	s_and_saveexec_b32 s47, s1
	s_cbranch_execz .LBB20_85
; %bb.81:                               ;   in Loop: Header=BB20_4 Depth=1
	v_add_nc_u64_e32 v[28:29], s[58:59], v[22:23]
	v_mov_b32_e32 v30, v4
	s_mov_b32 s68, 0
	s_branch .LBB20_83
.LBB20_82:                              ;   in Loop: Header=BB20_83 Depth=2
	v_add_nc_u32_e32 v30, s12, v30
	v_add_nc_u64_e32 v[28:29], s[50:51], v[28:29]
	s_wait_loadcnt 0x0
	global_store_b128 v[32:33], v[0:3], off
	v_cmp_le_i32_e32 vcc_lo, s23, v30
	s_or_b32 s68, vcc_lo, s68
	s_wait_xcnt 0x0
	s_and_not1_b32 exec_lo, exec_lo, s68
	s_cbranch_execz .LBB20_85
.LBB20_83:                              ;   Parent Loop BB20_4 Depth=1
                                        ; =>  This Loop Header: Depth=2
                                        ;       Child Loop BB20_84 Depth 3
	s_delay_alu instid0(VALU_DEP_1) | instskip(NEXT) | instid1(VALU_DEP_3)
	v_ashrrev_i32_e32 v31, 31, v30
	v_mov_b64_e32 v[34:35], v[28:29]
	s_and_not1_b32 vcc_lo, exec_lo, s88
	s_mov_b64 s[64:65], s[62:63]
	s_mov_b64 s[66:67], s[60:61]
	v_mul_u64_e32 v[0:1], s[20:21], v[30:31]
	s_mov_b32 s69, s13
	s_delay_alu instid0(VALU_DEP_1)
	v_lshl_add_u64 v[32:33], v[0:1], 4, s[56:57]
	global_load_b128 v[0:3], v[32:33], off
	s_cbranch_vccnz .LBB20_82
.LBB20_84:                              ;   Parent Loop BB20_4 Depth=1
                                        ;     Parent Loop BB20_83 Depth=2
                                        ; =>    This Inner Loop Header: Depth=3
	s_clause 0x1
	global_load_b64 v[40:41], v5, s[64:65]
	global_load_b64 v[42:43], v5, s[66:67]
	global_load_b128 v[36:39], v[34:35], off offset:-8
	s_wait_loadcnt 0x3
	v_mov_b64_e32 v[44:45], v[0:1]
	v_mov_b64_e32 v[46:47], v[2:3]
	s_add_co_i32 s69, s69, -1
	s_wait_xcnt 0x1
	s_add_nc_u64 s[66:67], s[66:67], -8
	s_cmp_lt_u32 s69, 3
	s_add_nc_u64 s[64:65], s[64:65], -8
	s_wait_loadcnt 0x2
	v_mul_f64_e32 v[48:49], v[44:45], v[40:41]
	v_mul_f64_e32 v[50:51], v[46:47], v[40:41]
	s_wait_loadcnt 0x0
	v_mul_f64_e32 v[0:1], v[40:41], v[36:37]
	v_mul_f64_e32 v[2:3], v[40:41], v[38:39]
	s_delay_alu instid0(VALU_DEP_4) | instskip(NEXT) | instid1(VALU_DEP_4)
	v_fma_f64 v[36:37], v[42:43], v[36:37], -v[48:49]
	v_fma_f64 v[38:39], v[42:43], v[38:39], -v[50:51]
	s_delay_alu instid0(VALU_DEP_4) | instskip(NEXT) | instid1(VALU_DEP_4)
	v_fmac_f64_e32 v[0:1], v[44:45], v[42:43]
	v_fmac_f64_e32 v[2:3], v[46:47], v[42:43]
	global_store_b128 v[34:35], v[36:39], off offset:-8
	s_wait_xcnt 0x0
	v_add_nc_u64_e32 v[34:35], -16, v[34:35]
	s_cbranch_scc0 .LBB20_84
	s_branch .LBB20_82
.LBB20_85:                              ;   in Loop: Header=BB20_4 Depth=1
	s_or_b32 exec_lo, exec_lo, s47
.LBB20_86:                              ;   in Loop: Header=BB20_4 Depth=1
	s_mov_b32 s47, 0
.LBB20_87:                              ;   in Loop: Header=BB20_4 Depth=1
	s_delay_alu instid0(SALU_CYCLE_1)
	s_and_not1_b32 vcc_lo, exec_lo, s47
	s_cbranch_vccnz .LBB20_94
; %bb.88:                               ;   in Loop: Header=BB20_4 Depth=1
	s_and_saveexec_b32 s47, s1
	s_cbranch_execz .LBB20_93
; %bb.89:                               ;   in Loop: Header=BB20_4 Depth=1
	v_add_nc_u64_e32 v[28:29], s[58:59], v[24:25]
	v_mov_b32_e32 v30, v4
	s_mov_b32 s68, 0
	s_branch .LBB20_91
.LBB20_90:                              ;   in Loop: Header=BB20_91 Depth=2
	v_add_nc_u32_e32 v30, s12, v30
	v_add_nc_u64_e32 v[28:29], s[50:51], v[28:29]
	s_wait_loadcnt 0x0
	global_store_b128 v[32:33], v[0:3], off
	v_cmp_le_i32_e32 vcc_lo, s23, v30
	s_or_b32 s68, vcc_lo, s68
	s_wait_xcnt 0x0
	s_and_not1_b32 exec_lo, exec_lo, s68
	s_cbranch_execz .LBB20_93
.LBB20_91:                              ;   Parent Loop BB20_4 Depth=1
                                        ; =>  This Loop Header: Depth=2
                                        ;       Child Loop BB20_92 Depth 3
	s_delay_alu instid0(VALU_DEP_1) | instskip(NEXT) | instid1(VALU_DEP_3)
	v_ashrrev_i32_e32 v31, 31, v30
	v_mov_b64_e32 v[34:35], v[28:29]
	s_and_not1_b32 vcc_lo, exec_lo, s88
	s_mov_b32 s69, s46
	s_mov_b64 s[64:65], s[54:55]
	v_mul_u64_e32 v[0:1], s[20:21], v[30:31]
	s_mov_b64 s[66:67], s[52:53]
	s_delay_alu instid0(VALU_DEP_1)
	v_lshl_add_u64 v[32:33], v[0:1], 4, s[56:57]
	global_load_b128 v[0:3], v[32:33], off
	s_cbranch_vccnz .LBB20_90
.LBB20_92:                              ;   Parent Loop BB20_4 Depth=1
                                        ;     Parent Loop BB20_91 Depth=2
                                        ; =>    This Inner Loop Header: Depth=3
	s_clause 0x1
	global_load_b64 v[40:41], v5, s[66:67]
	global_load_b64 v[42:43], v5, s[64:65]
	global_load_b128 v[36:39], v[34:35], off
	s_wait_loadcnt 0x3
	v_mov_b64_e32 v[44:45], v[0:1]
	v_mov_b64_e32 v[46:47], v[2:3]
	s_add_co_i32 s69, s69, -1
	s_wait_xcnt 0x2
	s_add_nc_u64 s[66:67], s[66:67], 8
	s_cmp_eq_u32 s69, 0
	s_wait_xcnt 0x1
	s_add_nc_u64 s[64:65], s[64:65], 8
	s_wait_loadcnt 0x2
	v_mul_f64_e32 v[48:49], v[44:45], v[40:41]
	v_mul_f64_e32 v[50:51], v[46:47], v[40:41]
	s_wait_loadcnt 0x0
	v_mul_f64_e32 v[0:1], v[40:41], v[36:37]
	v_mul_f64_e32 v[2:3], v[40:41], v[38:39]
	s_delay_alu instid0(VALU_DEP_4) | instskip(NEXT) | instid1(VALU_DEP_4)
	v_fma_f64 v[36:37], v[42:43], v[36:37], -v[48:49]
	v_fma_f64 v[38:39], v[42:43], v[38:39], -v[50:51]
	s_delay_alu instid0(VALU_DEP_4) | instskip(NEXT) | instid1(VALU_DEP_4)
	v_fmac_f64_e32 v[0:1], v[44:45], v[42:43]
	v_fmac_f64_e32 v[2:3], v[46:47], v[42:43]
	global_store_b128 v[34:35], v[36:39], off
	s_wait_xcnt 0x0
	v_add_nc_u64_e32 v[34:35], 16, v[34:35]
	s_cbranch_scc0 .LBB20_92
	s_branch .LBB20_90
.LBB20_93:                              ;   in Loop: Header=BB20_4 Depth=1
	s_or_b32 exec_lo, exec_lo, s47
.LBB20_94:                              ;   in Loop: Header=BB20_4 Depth=1
	s_mov_b32 s47, 0
.LBB20_95:                              ;   in Loop: Header=BB20_4 Depth=1
	s_delay_alu instid0(SALU_CYCLE_1)
	s_and_not1_b32 vcc_lo, exec_lo, s47
	s_cbranch_vccnz .LBB20_102
; %bb.96:                               ;   in Loop: Header=BB20_4 Depth=1
	s_and_saveexec_b32 s47, s1
	s_cbranch_execz .LBB20_101
; %bb.97:                               ;   in Loop: Header=BB20_4 Depth=1
	v_add_nc_u64_e32 v[28:29], s[58:59], v[14:15]
	v_mov_b32_e32 v30, v4
	s_lshl_b64 s[64:65], s[30:31], 4
	s_mov_b32 s70, 0
	s_add_nc_u64 s[64:65], s[56:57], s[64:65]
	s_branch .LBB20_99
.LBB20_98:                              ;   in Loop: Header=BB20_99 Depth=2
	v_add_nc_u32_e32 v30, s12, v30
	v_add_nc_u64_e32 v[28:29], s[50:51], v[28:29]
	v_lshl_add_u64 v[32:33], v[32:33], 4, s[56:57]
	s_delay_alu instid0(VALU_DEP_3)
	v_cmp_le_i32_e32 vcc_lo, s23, v30
	s_wait_loadcnt 0x0
	global_store_b128 v[32:33], v[0:3], off
	s_or_b32 s70, vcc_lo, s70
	s_wait_xcnt 0x0
	s_and_not1_b32 exec_lo, exec_lo, s70
	s_cbranch_execz .LBB20_101
.LBB20_99:                              ;   Parent Loop BB20_4 Depth=1
                                        ; =>  This Loop Header: Depth=2
                                        ;       Child Loop BB20_100 Depth 3
	v_ashrrev_i32_e32 v31, 31, v30
	v_mov_b64_e32 v[34:35], v[28:29]
	s_and_not1_b32 vcc_lo, exec_lo, s88
	s_mov_b64 s[66:67], s[62:63]
	s_mov_b64 s[68:69], s[60:61]
	v_mul_u64_e32 v[32:33], s[20:21], v[30:31]
	s_mov_b32 s71, s46
	s_delay_alu instid0(VALU_DEP_1)
	v_lshl_add_u64 v[0:1], v[32:33], 4, s[64:65]
	global_load_b128 v[0:3], v[0:1], off offset:-16
	s_cbranch_vccnz .LBB20_98
.LBB20_100:                             ;   Parent Loop BB20_4 Depth=1
                                        ;     Parent Loop BB20_99 Depth=2
                                        ; =>    This Inner Loop Header: Depth=3
	global_load_b128 v[36:39], v[34:35], off
	s_clause 0x1
	global_load_b64 v[40:41], v5, s[66:67]
	global_load_b64 v[42:43], v5, s[68:69]
	s_wait_loadcnt 0x3
	v_mov_b64_e32 v[48:49], v[2:3]
	v_mov_b64_e32 v[50:51], v[0:1]
	s_add_co_i32 s71, s71, -1
	s_wait_xcnt 0x0
	s_add_nc_u64 s[68:69], s[68:69], -8
	s_cmp_eq_u32 s71, 0
	s_add_nc_u64 s[66:67], s[66:67], -8
	s_wait_loadcnt 0x1
	v_mul_f64_e32 v[44:45], v[40:41], v[36:37]
	v_mul_f64_e32 v[46:47], v[40:41], v[38:39]
	s_wait_loadcnt 0x0
	v_mul_f64_e32 v[0:1], v[42:43], v[36:37]
	v_mul_f64_e32 v[2:3], v[42:43], v[38:39]
	s_delay_alu instid0(VALU_DEP_4) | instskip(NEXT) | instid1(VALU_DEP_4)
	v_fma_f64 v[36:37], v[50:51], v[42:43], -v[44:45]
	v_fma_f64 v[38:39], v[48:49], v[42:43], -v[46:47]
	s_delay_alu instid0(VALU_DEP_4) | instskip(NEXT) | instid1(VALU_DEP_4)
	v_fmac_f64_e32 v[0:1], v[50:51], v[40:41]
	v_fmac_f64_e32 v[2:3], v[48:49], v[40:41]
	global_store_b128 v[34:35], v[36:39], off offset:16
	s_wait_xcnt 0x0
	v_add_nc_u64_e32 v[34:35], -16, v[34:35]
	s_cbranch_scc0 .LBB20_100
	s_branch .LBB20_98
.LBB20_101:                             ;   in Loop: Header=BB20_4 Depth=1
	s_or_b32 exec_lo, exec_lo, s47
.LBB20_102:                             ;   in Loop: Header=BB20_4 Depth=1
	s_cbranch_execnz .LBB20_3
.LBB20_103:                             ;   in Loop: Header=BB20_4 Depth=1
	s_and_saveexec_b32 s47, s1
	s_cbranch_execz .LBB20_2
; %bb.104:                              ;   in Loop: Header=BB20_4 Depth=1
	v_add_nc_u64_e32 v[28:29], s[58:59], v[26:27]
	v_mov_b32_e32 v30, v4
	s_lshl_b64 s[58:59], s[30:31], 4
	s_mov_b32 s64, 0
	s_add_nc_u64 s[58:59], s[56:57], s[58:59]
	s_branch .LBB20_106
.LBB20_105:                             ;   in Loop: Header=BB20_106 Depth=2
	v_add_nc_u32_e32 v30, s12, v30
	v_add_nc_u64_e32 v[28:29], s[50:51], v[28:29]
	v_lshl_add_u64 v[32:33], v[32:33], 4, s[58:59]
	s_delay_alu instid0(VALU_DEP_3)
	v_cmp_le_i32_e32 vcc_lo, s23, v30
	s_wait_loadcnt 0x0
	global_store_b128 v[32:33], v[0:3], off offset:-16
	s_or_b32 s64, vcc_lo, s64
	s_wait_xcnt 0x0
	s_and_not1_b32 exec_lo, exec_lo, s64
	s_cbranch_execz .LBB20_2
.LBB20_106:                             ;   Parent Loop BB20_4 Depth=1
                                        ; =>  This Loop Header: Depth=2
                                        ;       Child Loop BB20_107 Depth 3
	v_ashrrev_i32_e32 v31, 31, v30
	v_mov_b64_e32 v[34:35], v[28:29]
	s_and_not1_b32 vcc_lo, exec_lo, s88
	s_mov_b64 s[60:61], s[54:55]
	s_mov_b64 s[62:63], s[52:53]
	v_mul_u64_e32 v[32:33], s[20:21], v[30:31]
	s_mov_b32 s65, s46
	s_delay_alu instid0(VALU_DEP_1)
	v_lshl_add_u64 v[0:1], v[32:33], 4, s[56:57]
	global_load_b128 v[0:3], v[0:1], off
	s_cbranch_vccnz .LBB20_105
.LBB20_107:                             ;   Parent Loop BB20_4 Depth=1
                                        ;     Parent Loop BB20_106 Depth=2
                                        ; =>    This Inner Loop Header: Depth=3
	global_load_b128 v[36:39], v[34:35], off offset:-8
	s_clause 0x1
	global_load_b64 v[44:45], v5, s[62:63]
	global_load_b64 v[46:47], v5, s[60:61]
	s_add_co_i32 s65, s65, -1
	s_wait_xcnt 0x1
	s_add_nc_u64 s[62:63], s[62:63], 8
	s_cmp_eq_u32 s65, 0
	s_wait_xcnt 0x0
	s_add_nc_u64 s[60:61], s[60:61], 8
	s_wait_loadcnt 0x1
	v_mul_f64_e32 v[40:41], v[44:45], v[36:37]
	v_mul_f64_e32 v[42:43], v[44:45], v[38:39]
	;; [unrolled: 1-line block ×4, first 2 shown]
	s_wait_loadcnt 0x0
	s_delay_alu instid0(VALU_DEP_4) | instskip(NEXT) | instid1(VALU_DEP_4)
	v_fmac_f64_e32 v[40:41], v[0:1], v[46:47]
	v_fmac_f64_e32 v[42:43], v[2:3], v[46:47]
	s_delay_alu instid0(VALU_DEP_4) | instskip(NEXT) | instid1(VALU_DEP_4)
	v_fma_f64 v[0:1], v[46:47], v[36:37], -v[48:49]
	v_fma_f64 v[2:3], v[46:47], v[38:39], -v[44:45]
	global_store_b128 v[34:35], v[40:43], off offset:-24
	s_wait_xcnt 0x0
	v_add_nc_u64_e32 v[34:35], 16, v[34:35]
	s_cbranch_scc0 .LBB20_107
	s_branch .LBB20_105
.LBB20_108:
	s_endpgm
	.section	.rodata,"a",@progbits
	.p2align	6, 0x0
	.amdhsa_kernel _ZN9rocsolver6v33100L11lasr_kernelI19rocblas_complex_numIdEdPS3_iEEv13rocblas_side_14rocblas_pivot_15rocblas_direct_T2_S8_PT0_lSA_lT1_lS8_lS8_
		.amdhsa_group_segment_fixed_size 0
		.amdhsa_private_segment_fixed_size 0
		.amdhsa_kernarg_size 352
		.amdhsa_user_sgpr_count 2
		.amdhsa_user_sgpr_dispatch_ptr 0
		.amdhsa_user_sgpr_queue_ptr 0
		.amdhsa_user_sgpr_kernarg_segment_ptr 1
		.amdhsa_user_sgpr_dispatch_id 0
		.amdhsa_user_sgpr_kernarg_preload_length 0
		.amdhsa_user_sgpr_kernarg_preload_offset 0
		.amdhsa_user_sgpr_private_segment_size 0
		.amdhsa_wavefront_size32 1
		.amdhsa_uses_dynamic_stack 0
		.amdhsa_enable_private_segment 0
		.amdhsa_system_sgpr_workgroup_id_x 1
		.amdhsa_system_sgpr_workgroup_id_y 0
		.amdhsa_system_sgpr_workgroup_id_z 1
		.amdhsa_system_sgpr_workgroup_info 0
		.amdhsa_system_vgpr_workitem_id 0
		.amdhsa_next_free_vgpr 54
		.amdhsa_next_free_sgpr 91
		.amdhsa_named_barrier_count 0
		.amdhsa_reserve_vcc 1
		.amdhsa_float_round_mode_32 0
		.amdhsa_float_round_mode_16_64 0
		.amdhsa_float_denorm_mode_32 3
		.amdhsa_float_denorm_mode_16_64 3
		.amdhsa_fp16_overflow 0
		.amdhsa_memory_ordered 1
		.amdhsa_forward_progress 1
		.amdhsa_inst_pref_size 36
		.amdhsa_round_robin_scheduling 0
		.amdhsa_exception_fp_ieee_invalid_op 0
		.amdhsa_exception_fp_denorm_src 0
		.amdhsa_exception_fp_ieee_div_zero 0
		.amdhsa_exception_fp_ieee_overflow 0
		.amdhsa_exception_fp_ieee_underflow 0
		.amdhsa_exception_fp_ieee_inexact 0
		.amdhsa_exception_int_div_zero 0
	.end_amdhsa_kernel
	.section	.text._ZN9rocsolver6v33100L11lasr_kernelI19rocblas_complex_numIdEdPS3_iEEv13rocblas_side_14rocblas_pivot_15rocblas_direct_T2_S8_PT0_lSA_lT1_lS8_lS8_,"axG",@progbits,_ZN9rocsolver6v33100L11lasr_kernelI19rocblas_complex_numIdEdPS3_iEEv13rocblas_side_14rocblas_pivot_15rocblas_direct_T2_S8_PT0_lSA_lT1_lS8_lS8_,comdat
.Lfunc_end20:
	.size	_ZN9rocsolver6v33100L11lasr_kernelI19rocblas_complex_numIdEdPS3_iEEv13rocblas_side_14rocblas_pivot_15rocblas_direct_T2_S8_PT0_lSA_lT1_lS8_lS8_, .Lfunc_end20-_ZN9rocsolver6v33100L11lasr_kernelI19rocblas_complex_numIdEdPS3_iEEv13rocblas_side_14rocblas_pivot_15rocblas_direct_T2_S8_PT0_lSA_lT1_lS8_lS8_
                                        ; -- End function
	.set _ZN9rocsolver6v33100L11lasr_kernelI19rocblas_complex_numIdEdPS3_iEEv13rocblas_side_14rocblas_pivot_15rocblas_direct_T2_S8_PT0_lSA_lT1_lS8_lS8_.num_vgpr, 54
	.set _ZN9rocsolver6v33100L11lasr_kernelI19rocblas_complex_numIdEdPS3_iEEv13rocblas_side_14rocblas_pivot_15rocblas_direct_T2_S8_PT0_lSA_lT1_lS8_lS8_.num_agpr, 0
	.set _ZN9rocsolver6v33100L11lasr_kernelI19rocblas_complex_numIdEdPS3_iEEv13rocblas_side_14rocblas_pivot_15rocblas_direct_T2_S8_PT0_lSA_lT1_lS8_lS8_.numbered_sgpr, 91
	.set _ZN9rocsolver6v33100L11lasr_kernelI19rocblas_complex_numIdEdPS3_iEEv13rocblas_side_14rocblas_pivot_15rocblas_direct_T2_S8_PT0_lSA_lT1_lS8_lS8_.num_named_barrier, 0
	.set _ZN9rocsolver6v33100L11lasr_kernelI19rocblas_complex_numIdEdPS3_iEEv13rocblas_side_14rocblas_pivot_15rocblas_direct_T2_S8_PT0_lSA_lT1_lS8_lS8_.private_seg_size, 0
	.set _ZN9rocsolver6v33100L11lasr_kernelI19rocblas_complex_numIdEdPS3_iEEv13rocblas_side_14rocblas_pivot_15rocblas_direct_T2_S8_PT0_lSA_lT1_lS8_lS8_.uses_vcc, 1
	.set _ZN9rocsolver6v33100L11lasr_kernelI19rocblas_complex_numIdEdPS3_iEEv13rocblas_side_14rocblas_pivot_15rocblas_direct_T2_S8_PT0_lSA_lT1_lS8_lS8_.uses_flat_scratch, 0
	.set _ZN9rocsolver6v33100L11lasr_kernelI19rocblas_complex_numIdEdPS3_iEEv13rocblas_side_14rocblas_pivot_15rocblas_direct_T2_S8_PT0_lSA_lT1_lS8_lS8_.has_dyn_sized_stack, 0
	.set _ZN9rocsolver6v33100L11lasr_kernelI19rocblas_complex_numIdEdPS3_iEEv13rocblas_side_14rocblas_pivot_15rocblas_direct_T2_S8_PT0_lSA_lT1_lS8_lS8_.has_recursion, 0
	.set _ZN9rocsolver6v33100L11lasr_kernelI19rocblas_complex_numIdEdPS3_iEEv13rocblas_side_14rocblas_pivot_15rocblas_direct_T2_S8_PT0_lSA_lT1_lS8_lS8_.has_indirect_call, 0
	.section	.AMDGPU.csdata,"",@progbits
; Kernel info:
; codeLenInByte = 4536
; TotalNumSgprs: 93
; NumVgprs: 54
; ScratchSize: 0
; MemoryBound: 0
; FloatMode: 240
; IeeeMode: 1
; LDSByteSize: 0 bytes/workgroup (compile time only)
; SGPRBlocks: 0
; VGPRBlocks: 3
; NumSGPRsForWavesPerEU: 93
; NumVGPRsForWavesPerEU: 54
; NamedBarCnt: 0
; Occupancy: 16
; WaveLimiterHint : 0
; COMPUTE_PGM_RSRC2:SCRATCH_EN: 0
; COMPUTE_PGM_RSRC2:USER_SGPR: 2
; COMPUTE_PGM_RSRC2:TRAP_HANDLER: 0
; COMPUTE_PGM_RSRC2:TGID_X_EN: 1
; COMPUTE_PGM_RSRC2:TGID_Y_EN: 0
; COMPUTE_PGM_RSRC2:TGID_Z_EN: 1
; COMPUTE_PGM_RSRC2:TIDIG_COMP_CNT: 0
	.section	.text._ZN9rocsolver6v33100L11swap_kernelI19rocblas_complex_numIdEiEEvT0_PT_S4_S6_S4_,"axG",@progbits,_ZN9rocsolver6v33100L11swap_kernelI19rocblas_complex_numIdEiEEvT0_PT_S4_S6_S4_,comdat
	.globl	_ZN9rocsolver6v33100L11swap_kernelI19rocblas_complex_numIdEiEEvT0_PT_S4_S6_S4_ ; -- Begin function _ZN9rocsolver6v33100L11swap_kernelI19rocblas_complex_numIdEiEEvT0_PT_S4_S6_S4_
	.p2align	8
	.type	_ZN9rocsolver6v33100L11swap_kernelI19rocblas_complex_numIdEiEEvT0_PT_S4_S6_S4_,@function
_ZN9rocsolver6v33100L11swap_kernelI19rocblas_complex_numIdEiEEvT0_PT_S4_S6_S4_: ; @_ZN9rocsolver6v33100L11swap_kernelI19rocblas_complex_numIdEiEEvT0_PT_S4_S6_S4_
; %bb.0:
	s_load_b32 s12, s[2:3], 0x0
	s_wait_kmcnt 0x0
	s_cmp_lt_i32 s12, 1
	s_cbranch_scc1 .LBB21_10
; %bb.1:
	s_load_b64 s[14:15], s[0:1], 0x4
	s_clause 0x3
	s_load_b32 s7, s[2:3], 0x34
	s_load_b96 s[4:6], s[2:3], 0x8
	s_load_b32 s11, s[2:3], 0x28
	s_load_b96 s[8:10], s[2:3], 0x18
	s_wait_xcnt 0x0
	s_bfe_u32 s0, ttmp6, 0x4000c
	s_and_b32 s1, ttmp6, 15
	s_add_co_i32 s0, s0, 1
	s_getreg_b32 s2, hwreg(HW_REG_IB_STS2, 6, 4)
	s_mul_i32 s0, ttmp9, s0
	v_and_b32_e32 v1, 0x3ff, v0
	s_add_co_i32 s1, s1, s0
	v_bfe_u32 v3, v0, 10, 10
	v_bfe_u32 v0, v0, 20, 10
	s_wait_kmcnt 0x0
	s_lshr_b32 s0, s14, 16
	s_and_b32 s3, s7, 0xffff
	s_cmp_eq_u32 s2, 0
	s_mul_i32 s0, s0, s15
	s_cselect_b32 s1, ttmp9, s1
	v_mul_lo_u32 v4, s0, v1
	v_mad_u32 v2, s1, s3, v1
	s_cmp_eq_u32 s6, 1
	v_mul_u32_u24_e32 v1, s15, v3
	s_cselect_b32 s0, -1, 0
	s_cmp_eq_u32 s10, 1
	s_mul_i32 s2, s11, s3
	s_cselect_b32 s1, -1, 0
	s_delay_alu instid0(SALU_CYCLE_1) | instskip(NEXT) | instid1(VALU_DEP_3)
	s_and_b32 s1, s0, s1
	v_add3_u32 v6, v4, v1, v0
	s_delay_alu instid0(VALU_DEP_3)
	v_cmp_gt_i32_e64 s0, s12, v2
	s_and_b32 vcc_lo, exec_lo, s1
	s_mov_b32 s1, -1
	s_cbranch_vccnz .LBB21_6
; %bb.2:
	s_and_saveexec_b32 s1, s0
	s_cbranch_execz .LBB21_5
; %bb.3:
	v_dual_ashrrev_i32 v3, 31, v2 :: v_dual_mov_b32 v7, v2
	s_ashr_i32 s7, s6, 31
	s_ashr_i32 s11, s10, 31
	;; [unrolled: 1-line block ×3, first 2 shown]
	s_delay_alu instid0(VALU_DEP_1)
	v_mul_u64_e32 v[0:1], s[10:11], v[2:3]
	v_mul_u64_e32 v[4:5], s[6:7], v[2:3]
	v_lshlrev_b32_e32 v3, 4, v6
	s_mul_u64 s[10:11], s[10:11], s[2:3]
	s_mul_u64 s[14:15], s[6:7], s[2:3]
	s_lshl_b64 s[6:7], s[10:11], 4
	s_lshl_b64 s[10:11], s[14:15], 4
	s_mov_b32 s3, 0
	s_delay_alu instid0(VALU_DEP_3) | instskip(NEXT) | instid1(VALU_DEP_3)
	v_lshl_add_u64 v[0:1], v[0:1], 4, s[8:9]
	v_lshl_add_u64 v[4:5], v[4:5], 4, s[4:5]
.LBB21_4:                               ; =>This Inner Loop Header: Depth=1
	global_load_b128 v[8:11], v[4:5], off
	global_load_b128 v[12:15], v[0:1], off
	v_add_nc_u32_e32 v7, s2, v7
	s_wait_loadcnt 0x1
	global_store_b128 v[0:1], v[8:11], off
	s_wait_loadcnt 0x0
	global_store_b128 v[4:5], v[12:15], off
	v_cmp_le_i32_e32 vcc_lo, s12, v7
	s_wait_xcnt 0x1
	v_add_nc_u64_e32 v[0:1], s[6:7], v[0:1]
	s_wait_xcnt 0x0
	v_add_nc_u64_e32 v[4:5], s[10:11], v[4:5]
	ds_store_2addr_b64 v3, v[12:13], v[14:15] offset1:1
	s_or_b32 s3, vcc_lo, s3
	s_delay_alu instid0(SALU_CYCLE_1)
	s_and_not1_b32 exec_lo, exec_lo, s3
	s_cbranch_execnz .LBB21_4
.LBB21_5:
	s_or_b32 exec_lo, exec_lo, s1
	s_mov_b32 s1, 0
.LBB21_6:
	s_delay_alu instid0(SALU_CYCLE_1)
	s_and_not1_b32 vcc_lo, exec_lo, s1
	s_cbranch_vccnz .LBB21_10
; %bb.7:
	s_and_saveexec_b32 s1, s0
	s_cbranch_execz .LBB21_10
; %bb.8:
	v_ashrrev_i32_e32 v3, 31, v2
	s_ashr_i32 s3, s2, 31
	s_delay_alu instid0(SALU_CYCLE_1) | instskip(SKIP_1) | instid1(VALU_DEP_1)
	s_lshl_b64 s[0:1], s[2:3], 4
	s_mov_b32 s3, 0
	v_lshlrev_b64_e32 v[0:1], 4, v[2:3]
	v_lshl_add_u32 v3, v6, 4, 0x4000
.LBB21_9:                               ; =>This Inner Loop Header: Depth=1
	s_delay_alu instid0(VALU_DEP_2)
	v_add_nc_u64_e32 v[12:13], s[8:9], v[0:1]
	v_add_nc_u64_e32 v[14:15], s[4:5], v[0:1]
	v_add_nc_u32_e32 v2, s2, v2
	v_add_nc_u64_e32 v[0:1], s[0:1], v[0:1]
	global_load_b128 v[4:7], v[12:13], off
	global_load_b128 v[8:11], v[14:15], off
	v_cmp_le_i32_e32 vcc_lo, s12, v2
	s_or_b32 s3, vcc_lo, s3
	s_wait_loadcnt 0x1
	ds_store_2addr_b64 v3, v[4:5], v[6:7] offset1:1
	s_wait_loadcnt 0x0
	global_store_b128 v[12:13], v[8:11], off
	global_store_b128 v[14:15], v[4:7], off
	s_wait_xcnt 0x0
	s_and_not1_b32 exec_lo, exec_lo, s3
	s_cbranch_execnz .LBB21_9
.LBB21_10:
	s_endpgm
	.section	.rodata,"a",@progbits
	.p2align	6, 0x0
	.amdhsa_kernel _ZN9rocsolver6v33100L11swap_kernelI19rocblas_complex_numIdEiEEvT0_PT_S4_S6_S4_
		.amdhsa_group_segment_fixed_size 32768
		.amdhsa_private_segment_fixed_size 0
		.amdhsa_kernarg_size 296
		.amdhsa_user_sgpr_count 4
		.amdhsa_user_sgpr_dispatch_ptr 1
		.amdhsa_user_sgpr_queue_ptr 0
		.amdhsa_user_sgpr_kernarg_segment_ptr 1
		.amdhsa_user_sgpr_dispatch_id 0
		.amdhsa_user_sgpr_kernarg_preload_length 0
		.amdhsa_user_sgpr_kernarg_preload_offset 0
		.amdhsa_user_sgpr_private_segment_size 0
		.amdhsa_wavefront_size32 1
		.amdhsa_uses_dynamic_stack 0
		.amdhsa_enable_private_segment 0
		.amdhsa_system_sgpr_workgroup_id_x 1
		.amdhsa_system_sgpr_workgroup_id_y 0
		.amdhsa_system_sgpr_workgroup_id_z 0
		.amdhsa_system_sgpr_workgroup_info 0
		.amdhsa_system_vgpr_workitem_id 2
		.amdhsa_next_free_vgpr 16
		.amdhsa_next_free_sgpr 16
		.amdhsa_named_barrier_count 0
		.amdhsa_reserve_vcc 1
		.amdhsa_float_round_mode_32 0
		.amdhsa_float_round_mode_16_64 0
		.amdhsa_float_denorm_mode_32 3
		.amdhsa_float_denorm_mode_16_64 3
		.amdhsa_fp16_overflow 0
		.amdhsa_memory_ordered 1
		.amdhsa_forward_progress 1
		.amdhsa_inst_pref_size 5
		.amdhsa_round_robin_scheduling 0
		.amdhsa_exception_fp_ieee_invalid_op 0
		.amdhsa_exception_fp_denorm_src 0
		.amdhsa_exception_fp_ieee_div_zero 0
		.amdhsa_exception_fp_ieee_overflow 0
		.amdhsa_exception_fp_ieee_underflow 0
		.amdhsa_exception_fp_ieee_inexact 0
		.amdhsa_exception_int_div_zero 0
	.end_amdhsa_kernel
	.section	.text._ZN9rocsolver6v33100L11swap_kernelI19rocblas_complex_numIdEiEEvT0_PT_S4_S6_S4_,"axG",@progbits,_ZN9rocsolver6v33100L11swap_kernelI19rocblas_complex_numIdEiEEvT0_PT_S4_S6_S4_,comdat
.Lfunc_end21:
	.size	_ZN9rocsolver6v33100L11swap_kernelI19rocblas_complex_numIdEiEEvT0_PT_S4_S6_S4_, .Lfunc_end21-_ZN9rocsolver6v33100L11swap_kernelI19rocblas_complex_numIdEiEEvT0_PT_S4_S6_S4_
                                        ; -- End function
	.set _ZN9rocsolver6v33100L11swap_kernelI19rocblas_complex_numIdEiEEvT0_PT_S4_S6_S4_.num_vgpr, 16
	.set _ZN9rocsolver6v33100L11swap_kernelI19rocblas_complex_numIdEiEEvT0_PT_S4_S6_S4_.num_agpr, 0
	.set _ZN9rocsolver6v33100L11swap_kernelI19rocblas_complex_numIdEiEEvT0_PT_S4_S6_S4_.numbered_sgpr, 16
	.set _ZN9rocsolver6v33100L11swap_kernelI19rocblas_complex_numIdEiEEvT0_PT_S4_S6_S4_.num_named_barrier, 0
	.set _ZN9rocsolver6v33100L11swap_kernelI19rocblas_complex_numIdEiEEvT0_PT_S4_S6_S4_.private_seg_size, 0
	.set _ZN9rocsolver6v33100L11swap_kernelI19rocblas_complex_numIdEiEEvT0_PT_S4_S6_S4_.uses_vcc, 1
	.set _ZN9rocsolver6v33100L11swap_kernelI19rocblas_complex_numIdEiEEvT0_PT_S4_S6_S4_.uses_flat_scratch, 0
	.set _ZN9rocsolver6v33100L11swap_kernelI19rocblas_complex_numIdEiEEvT0_PT_S4_S6_S4_.has_dyn_sized_stack, 0
	.set _ZN9rocsolver6v33100L11swap_kernelI19rocblas_complex_numIdEiEEvT0_PT_S4_S6_S4_.has_recursion, 0
	.set _ZN9rocsolver6v33100L11swap_kernelI19rocblas_complex_numIdEiEEvT0_PT_S4_S6_S4_.has_indirect_call, 0
	.section	.AMDGPU.csdata,"",@progbits
; Kernel info:
; codeLenInByte = 592
; TotalNumSgprs: 18
; NumVgprs: 16
; ScratchSize: 0
; MemoryBound: 0
; FloatMode: 240
; IeeeMode: 1
; LDSByteSize: 32768 bytes/workgroup (compile time only)
; SGPRBlocks: 0
; VGPRBlocks: 0
; NumSGPRsForWavesPerEU: 18
; NumVGPRsForWavesPerEU: 16
; NamedBarCnt: 0
; Occupancy: 16
; WaveLimiterHint : 0
; COMPUTE_PGM_RSRC2:SCRATCH_EN: 0
; COMPUTE_PGM_RSRC2:USER_SGPR: 4
; COMPUTE_PGM_RSRC2:TRAP_HANDLER: 0
; COMPUTE_PGM_RSRC2:TGID_X_EN: 1
; COMPUTE_PGM_RSRC2:TGID_Y_EN: 0
; COMPUTE_PGM_RSRC2:TGID_Z_EN: 0
; COMPUTE_PGM_RSRC2:TIDIG_COMP_CNT: 2
	.section	.text._ZN9rocsolver6v33100L12steqr_kernelI19rocblas_complex_numIdEdPS3_EEviPT0_lS6_lT1_iilPiS6_iS5_S5_S5_,"axG",@progbits,_ZN9rocsolver6v33100L12steqr_kernelI19rocblas_complex_numIdEdPS3_EEviPT0_lS6_lT1_iilPiS6_iS5_S5_S5_,comdat
	.globl	_ZN9rocsolver6v33100L12steqr_kernelI19rocblas_complex_numIdEdPS3_EEviPT0_lS6_lT1_iilPiS6_iS5_S5_S5_ ; -- Begin function _ZN9rocsolver6v33100L12steqr_kernelI19rocblas_complex_numIdEdPS3_EEviPT0_lS6_lT1_iilPiS6_iS5_S5_S5_
	.p2align	8
	.type	_ZN9rocsolver6v33100L12steqr_kernelI19rocblas_complex_numIdEdPS3_EEviPT0_lS6_lT1_iilPiS6_iS5_S5_S5_,@function
_ZN9rocsolver6v33100L12steqr_kernelI19rocblas_complex_numIdEdPS3_EEviPT0_lS6_lT1_iilPiS6_iS5_S5_S5_: ; @_ZN9rocsolver6v33100L12steqr_kernelI19rocblas_complex_numIdEdPS3_EEviPT0_lS6_lT1_iilPiS6_iS5_S5_S5_
; %bb.0:
	s_clause 0x1
	s_load_b32 s4, s[2:3], 0x7c
	s_load_b32 s7, s[2:3], 0x70
	s_bfe_u32 s5, ttmp6, 0x4000c
	s_and_b32 s6, ttmp6, 15
	s_add_co_i32 s8, s5, 1
	s_getreg_b32 s5, hwreg(HW_REG_IB_STS2, 6, 4)
	s_mul_i32 s8, ttmp9, s8
	v_and_b32_e32 v1, 0x3ff, v0
	s_add_co_i32 s6, s6, s8
	s_wait_kmcnt 0x0
	s_and_b32 s24, s4, 0xffff
	s_cmp_eq_u32 s5, 0
	s_cselect_b32 s4, ttmp9, s6
	s_delay_alu instid0(SALU_CYCLE_1) | instskip(NEXT) | instid1(VALU_DEP_1)
	v_mad_u32 v6, s4, s24, v1
	v_cmp_eq_u32_e64 s4, 0, v6
	s_and_saveexec_b32 s6, s4
; %bb.1:
	v_mov_b32_e32 v2, 0
	ds_store_2addr_b32 v2, v2, v2 offset0:6 offset1:9
; %bb.2:
	s_or_b32 exec_lo, exec_lo, s6
	v_mov_b32_e32 v60, 0
	s_load_b32 s6, s[2:3], 0x0
	s_wait_dscnt 0x0
	s_barrier_signal -1
	s_barrier_wait -1
	ds_load_2addr_b32 v[2:3], v60 offset0:6 offset1:9
	s_clause 0x2
	s_load_b96 s[28:30], s[2:3], 0x48
	s_load_b256 s[16:23], s[2:3], 0x8
	s_load_b256 s[8:15], s[2:3], 0x28
	s_bfe_u32 s25, ttmp6, 0x40010
	s_bfe_u32 s26, ttmp6, 0x40004
	s_add_co_i32 s25, s25, 1
	s_mul_i32 s36, s7, s24
	s_mul_i32 s25, ttmp7, s25
	s_delay_alu instid0(SALU_CYCLE_1) | instskip(SKIP_2) | instid1(SALU_CYCLE_1)
	s_add_co_i32 s26, s26, s25
	s_cmp_eq_u32 s5, 0
	s_cselect_b32 s40, ttmp7, s26
	s_ashr_i32 s41, s40, 31
	s_wait_kmcnt 0x0
	s_add_co_i32 s38, s6, -1
	s_wait_dscnt 0x0
	v_cmp_gt_i32_e32 vcc_lo, s6, v2
	v_cmp_gt_i32_e64 s5, s30, v3
	s_mul_u64 s[18:19], s[18:19], s[40:41]
	v_readfirstlane_b32 s78, v2
	s_lshl_b64 s[34:35], s[18:19], 3
	s_mul_u64 s[42:43], s[22:23], s[40:41]
	s_and_b32 s5, vcc_lo, s5
	s_add_nc_u64 s[18:19], s[16:17], s[34:35]
	s_ashr_i32 s23, s10, 31
	s_mov_b32 s22, s10
	s_mul_u64 s[12:13], s[12:13], s[40:41]
	s_and_not1_b32 vcc_lo, exec_lo, s5
	s_cbranch_vccnz .LBB22_231
; %bb.3:
	s_clause 0x1
	s_load_b128 s[24:27], s[2:3], 0x58
	s_load_b64 s[44:45], s[2:3], 0x68
	s_wait_xcnt 0x0
	s_lshl_b64 s[2:3], s[42:43], 3
	s_lshl_b64 s[60:61], s[12:13], 4
	;; [unrolled: 1-line block ×3, first 2 shown]
	v_ashrrev_i32_e32 v7, 31, v6
	s_add_nc_u64 s[46:47], s[20:21], s[2:3]
	s_add_nc_u64 s[2:3], s[8:9], s[60:61]
	;; [unrolled: 1-line block ×3, first 2 shown]
	s_lshl_b32 s48, s6, 1
	s_add_nc_u64 s[60:61], s[8:9], s[60:61]
	s_ashr_i32 s49, s48, 31
	v_lshl_add_u64 v[2:3], v[6:7], 4, s[60:61]
	s_mul_u64 s[48:49], s[48:49], s[40:41]
	s_ashr_i32 s7, s6, 31
	s_lshl_b64 s[64:65], s[48:49], 3
	s_lshl_b64 s[66:67], s[6:7], 3
	v_add_nc_u64_e32 v[10:11], 8, v[2:3]
	v_mov_b64_e32 v[12:13], 0
	s_add_nc_u64 s[48:49], s[2:3], s[62:63]
	s_wait_kmcnt 0x0
	v_mul_f64_e64 v[8:9], s[24:25], s[24:25]
	s_ashr_i32 s53, s11, 31
	s_mov_b32 s52, s11
	s_add_nc_u64 s[62:63], s[64:65], s[66:67]
	v_cmp_gt_i32_e64 s2, s6, v6
	s_add_nc_u64 s[50:51], s[28:29], s[64:65]
	s_add_nc_u64 s[54:55], s[16:17], s[34:35]
	s_ashr_i32 s37, s36, 31
	s_add_nc_u64 s[28:29], s[28:29], s[62:63]
	s_lshl_b64 s[68:69], s[52:53], 4
	s_add_nc_u64 s[56:57], s[54:55], 8
	s_lshl_b64 s[58:59], s[36:37], 3
	s_add_nc_u64 s[28:29], s[28:29], -16
	s_add_nc_u64 s[60:61], s[50:51], -8
	;; [unrolled: 1-line block ×4, first 2 shown]
	s_mov_b64 s[66:67], 0x3ff6a09e667f3bcd
	s_lshl_b64 s[70:71], s[36:37], 4
	s_sub_nc_u64 s[72:73], 0, s[68:69]
	s_add_nc_u64 s[74:75], s[54:55], -8
	s_mov_b32 s77, 0
                                        ; implicit-def: $vgpr62
                                        ; implicit-def: $vgpr22_vgpr23
                                        ; implicit-def: $vgpr24_vgpr25
                                        ; implicit-def: $vgpr26_vgpr27
                                        ; implicit-def: $vgpr14_vgpr15
                                        ; implicit-def: $vgpr61
                                        ; implicit-def: $vgpr20_vgpr21
                                        ; implicit-def: $vgpr7
                                        ; implicit-def: $vgpr16_vgpr17
                                        ; implicit-def: $vgpr18_vgpr19
	s_branch .LBB22_7
.LBB22_4:                               ;   in Loop: Header=BB22_7 Depth=1
	s_or_b32 exec_lo, exec_lo, s3
.LBB22_5:                               ;   in Loop: Header=BB22_7 Depth=1
	s_wait_storecnt 0x0
	s_barrier_signal -1
	s_barrier_wait -1
.LBB22_6:                               ;   in Loop: Header=BB22_7 Depth=1
	ds_load_2addr_b32 v[2:3], v60 offset0:6 offset1:9
	s_wait_dscnt 0x0
	v_cmp_gt_i32_e32 vcc_lo, s6, v2
	v_cmp_gt_i32_e64 s3, s30, v3
	v_readfirstlane_b32 s78, v2
	s_and_b32 s3, vcc_lo, s3
	s_delay_alu instid0(SALU_CYCLE_1)
	s_and_not1_b32 vcc_lo, exec_lo, s3
	s_cbranch_vccnz .LBB22_231
.LBB22_7:                               ; =>This Loop Header: Depth=1
                                        ;     Child Loop BB22_15 Depth 2
                                        ;     Child Loop BB22_28 Depth 2
	;; [unrolled: 1-line block ×5, first 2 shown]
                                        ;       Child Loop BB22_157 Depth 3
                                        ;       Child Loop BB22_177 Depth 3
	;; [unrolled: 1-line block ×3, first 2 shown]
                                        ;         Child Loop BB22_229 Depth 4
                                        ;     Child Loop BB22_68 Depth 2
                                        ;       Child Loop BB22_75 Depth 3
                                        ;       Child Loop BB22_95 Depth 3
	;; [unrolled: 1-line block ×3, first 2 shown]
                                        ;         Child Loop BB22_147 Depth 4
                                        ;     Child Loop BB22_58 Depth 2
                                        ;     Child Loop BB22_65 Depth 2
	s_and_saveexec_b32 s5, s4
	s_cbranch_execz .LBB22_31
; %bb.8:                                ;   in Loop: Header=BB22_7 Depth=1
	s_cmp_lt_i32 s78, 1
	s_cbranch_scc1 .LBB22_10
; %bb.9:                                ;   in Loop: Header=BB22_7 Depth=1
	v_mov_b32_e32 v2, s78
	global_store_b64 v2, v[12:13], s[46:47] offset:-8 scale_offset
.LBB22_10:                              ;   in Loop: Header=BB22_7 Depth=1
	s_mov_b32 s31, -1
	s_mov_b32 s3, 0
	s_cmp_lt_i32 s78, s38
	s_mov_b32 s10, 0
	s_cbranch_scc1 .LBB22_12
; %bb.11:                               ;   in Loop: Header=BB22_7 Depth=1
	s_ashr_i32 s79, s78, 31
	s_mov_b32 s31, 0
	s_mov_b32 s10, -1
.LBB22_12:                              ;   in Loop: Header=BB22_7 Depth=1
	s_and_not1_b32 vcc_lo, exec_lo, s31
	s_cbranch_vccnz .LBB22_17
; %bb.13:                               ;   in Loop: Header=BB22_7 Depth=1
	s_ashr_i32 s79, s78, 31
	s_delay_alu instid0(SALU_CYCLE_1)
	s_lshl_b64 s[80:81], s[78:79], 3
	s_mov_b64 s[82:83], s[78:79]
	s_add_nc_u64 s[86:87], s[46:47], s[80:81]
	s_add_nc_u64 s[80:81], s[56:57], s[80:81]
	s_branch .LBB22_15
.LBB22_14:                              ;   in Loop: Header=BB22_15 Depth=2
	s_and_not1_b32 vcc_lo, exec_lo, s31
	s_cbranch_vccz .LBB22_18
.LBB22_15:                              ;   Parent Loop BB22_7 Depth=1
                                        ; =>  This Inner Loop Header: Depth=2
	s_clause 0x1
	global_load_b128 v[2:5], v60, s[80:81] offset:-8
	global_load_b64 v[30:31], v60, s[86:87]
	s_mov_b64 s[84:85], s[86:87]
	s_mov_b64 s[88:89], s[82:83]
                                        ; implicit-def: $sgpr82_sgpr83
                                        ; implicit-def: $sgpr86_sgpr87
	s_wait_loadcnt 0x1
	v_cmp_gt_f64_e64 s3, 0x10000000, |v[2:3]|
	v_cmp_gt_f64_e64 s31, 0x10000000, |v[4:5]|
	s_and_b32 s3, s3, exec_lo
	s_cselect_b32 s3, 0x100, 0
	s_cselect_b32 s33, 0xffffff80, 0
	s_and_b32 s31, s31, exec_lo
	s_cselect_b32 s31, 0x100, 0
	v_ldexp_f64 v[2:3], |v[2:3]|, s3
	v_ldexp_f64 v[4:5], |v[4:5]|, s31
	s_cselect_b32 s3, 0xffffff80, 0
	s_delay_alu instid0(VALU_DEP_2) | instskip(NEXT) | instid1(VALU_DEP_2)
	v_cmp_class_f64_e64 vcc_lo, v[2:3], 0x260
	v_rsq_f64_e32 v[24:25], v[4:5]
	v_rsq_f64_e32 v[22:23], v[2:3]
	s_delay_alu instid0(TRANS32_DEP_2) | instskip(SKIP_1) | instid1(VALU_DEP_1)
	v_mul_f64_e32 v[28:29], v[4:5], v[24:25]
	v_mul_f64_e32 v[24:25], 0.5, v[24:25]
	v_fma_f64 v[34:35], -v[24:25], v[28:29], 0.5
	s_delay_alu instid0(VALU_DEP_1) | instskip(SKIP_1) | instid1(VALU_DEP_2)
	v_fmac_f64_e32 v[28:29], v[28:29], v[34:35]
	v_fmac_f64_e32 v[24:25], v[24:25], v[34:35]
	v_fma_f64 v[34:35], -v[28:29], v[28:29], v[4:5]
	s_delay_alu instid0(VALU_DEP_1) | instskip(NEXT) | instid1(VALU_DEP_1)
	v_fmac_f64_e32 v[28:29], v[34:35], v[24:25]
	v_fma_f64 v[34:35], -v[28:29], v[28:29], v[4:5]
	s_delay_alu instid0(VALU_DEP_1) | instskip(NEXT) | instid1(VALU_DEP_1)
	v_fmac_f64_e32 v[28:29], v[34:35], v[24:25]
	v_ldexp_f64 v[24:25], v[28:29], s3
	v_cmp_class_f64_e64 s3, v[4:5], 0x260
	s_delay_alu instid0(TRANS32_DEP_1) | instskip(NEXT) | instid1(VALU_DEP_2)
	v_mul_f64_e32 v[26:27], v[2:3], v[22:23]
	v_dual_mul_f64 v[22:23], 0.5, v[22:23] :: v_dual_cndmask_b32 v4, v24, v4, s3
	s_delay_alu instid0(VALU_DEP_4) | instskip(NEXT) | instid1(VALU_DEP_2)
	v_cndmask_b32_e64 v5, v25, v5, s3
	v_fma_f64 v[32:33], -v[22:23], v[26:27], 0.5
	s_mov_b32 s3, -1
	s_delay_alu instid0(VALU_DEP_1) | instskip(SKIP_1) | instid1(VALU_DEP_2)
	v_fmac_f64_e32 v[26:27], v[26:27], v[32:33]
	v_fmac_f64_e32 v[22:23], v[22:23], v[32:33]
	v_fma_f64 v[32:33], -v[26:27], v[26:27], v[2:3]
	s_delay_alu instid0(VALU_DEP_1) | instskip(NEXT) | instid1(VALU_DEP_1)
	v_fmac_f64_e32 v[26:27], v[32:33], v[22:23]
	v_fma_f64 v[32:33], -v[26:27], v[26:27], v[2:3]
	s_delay_alu instid0(VALU_DEP_1) | instskip(NEXT) | instid1(VALU_DEP_1)
	v_fmac_f64_e32 v[26:27], v[32:33], v[22:23]
	v_ldexp_f64 v[22:23], v[26:27], s33
	s_delay_alu instid0(VALU_DEP_1) | instskip(NEXT) | instid1(VALU_DEP_1)
	v_dual_cndmask_b32 v3, v23, v3 :: v_dual_cndmask_b32 v2, v22, v2
	v_mul_f64_e32 v[2:3], v[2:3], v[4:5]
	s_delay_alu instid0(VALU_DEP_1) | instskip(SKIP_1) | instid1(VALU_DEP_1)
	v_mul_f64_e32 v[2:3], s[24:25], v[2:3]
	s_wait_loadcnt 0x0
	v_cmp_nle_f64_e64 s31, |v[30:31]|, v[2:3]
	s_and_b32 vcc_lo, exec_lo, s31
	s_mov_b32 s31, -1
	s_cbranch_vccz .LBB22_14
; %bb.16:                               ;   in Loop: Header=BB22_15 Depth=2
	s_add_nc_u64 s[82:83], s[88:89], 1
	s_wait_xcnt 0x0
	s_add_nc_u64 s[86:87], s[84:85], 8
	s_cmp_ge_i32 s82, s38
	s_add_nc_u64 s[80:81], s[80:81], 8
	s_mov_b32 s3, 0
	s_cselect_b32 s31, -1, 0
	s_branch .LBB22_14
.LBB22_17:                              ;   in Loop: Header=BB22_7 Depth=1
	s_mov_b32 s31, s78
	s_mov_b64 s[80:81], s[78:79]
	s_and_b32 vcc_lo, exec_lo, s10
	s_cbranch_vccnz .LBB22_21
	s_branch .LBB22_22
.LBB22_18:                              ;   in Loop: Header=BB22_7 Depth=1
	s_xor_b32 s3, s3, -1
                                        ; implicit-def: $sgpr80_sgpr81
	s_delay_alu instid0(SALU_CYCLE_1)
	s_and_b32 vcc_lo, exec_lo, s3
	s_mov_b32 s3, -1
	s_cbranch_vccz .LBB22_20
; %bb.19:                               ;   in Loop: Header=BB22_7 Depth=1
	s_ashr_i32 s39, s38, 31
	s_mov_b32 s10, -1
	s_mov_b32 s3, 0
	s_wait_xcnt 0x1
	s_mov_b64 s[80:81], s[38:39]
.LBB22_20:                              ;   in Loop: Header=BB22_7 Depth=1
	v_mov_b64_e32 v[22:23], s[88:89]
	v_mov_b64_e32 v[24:25], s[84:85]
	;; [unrolled: 1-line block ×3, first 2 shown]
	v_mov_b32_e32 v62, s88
	s_mov_b32 s31, s38
	s_and_b32 vcc_lo, exec_lo, s10
	s_cbranch_vccz .LBB22_22
.LBB22_21:                              ;   in Loop: Header=BB22_7 Depth=1
	s_wait_xcnt 0x0
	v_mov_b32_e32 v2, s31
	ds_store_b32 v60, v2 offset:20
.LBB22_22:                              ;   in Loop: Header=BB22_7 Depth=1
	v_mov_b64_e32 v[4:5], s[78:79]
	s_wait_xcnt 0x0
	v_mov_b64_e32 v[2:3], s[80:81]
	v_mov_b32_e32 v30, s31
	s_and_not1_b32 vcc_lo, exec_lo, s3
	s_cbranch_vccnz .LBB22_24
; %bb.23:                               ;   in Loop: Header=BB22_7 Depth=1
	v_mov_b64_e32 v[4:5], v[26:27]
	v_mov_b64_e32 v[2:3], v[22:23]
	v_mov_b32_e32 v30, v62
	ds_store_b32 v60, v62 offset:20
	global_store_b64 v[24:25], v[12:13], off
.LBB22_24:                              ;   in Loop: Header=BB22_7 Depth=1
	s_delay_alu instid0(VALU_DEP_2)
	v_lshl_add_u64 v[2:3], v[2:3], 3, s[18:19]
	v_lshl_add_u64 v[28:29], v[4:5], 3, s[18:19]
	s_clause 0x1
	global_load_b64 v[2:3], v[2:3], off
	global_load_b64 v[28:29], v[28:29], off
	s_wait_loadcnt 0x0
	v_cmp_lt_f64_e64 s10, |v[2:3]|, |v[28:29]|
	s_wait_xcnt 0x0
	v_dual_mov_b32 v29, s78 :: v_dual_add_nc_u32 v28, 1, v30
	ds_store_2addr_b32 v60, v30, v30 offset0:8 offset1:10
	ds_store_b32 v60, v29 offset:16
	ds_store_b64 v60, v[28:29] offset:24
	s_and_saveexec_b32 s3, s10
; %bb.25:                               ;   in Loop: Header=BB22_7 Depth=1
	v_mov_b32_e32 v28, s78
	ds_store_2addr_b32 v60, v30, v28 offset0:4 offset1:8
; %bb.26:                               ;   in Loop: Header=BB22_7 Depth=1
	s_or_b32 exec_lo, exec_lo, s3
	v_and_b32_e32 v3, 0x7fffffff, v3
	s_mov_b32 s3, exec_lo
	v_cmpx_lt_i32_e64 s78, v30
	s_cbranch_execz .LBB22_30
; %bb.27:                               ;   in Loop: Header=BB22_7 Depth=1
	v_lshlrev_b64_e32 v[28:29], 3, v[4:5]
	s_mov_b32 s10, 0
	s_delay_alu instid0(VALU_DEP_1)
	v_add_nc_u64_e32 v[4:5], s[54:55], v[28:29]
	v_add_nc_u64_e32 v[28:29], s[46:47], v[28:29]
.LBB22_28:                              ;   Parent Loop BB22_7 Depth=1
                                        ; =>  This Inner Loop Header: Depth=2
	global_load_b64 v[32:33], v[28:29], off
	global_load_b64 v[34:35], v[4:5], off
	v_max_num_f64_e32 v[2:3], v[2:3], v[2:3]
	s_add_co_i32 s78, s78, 1
	s_wait_xcnt 0x0
	v_add_nc_u64_e32 v[4:5], 8, v[4:5]
	v_cmp_ge_i32_e32 vcc_lo, s78, v30
	v_add_nc_u64_e32 v[28:29], 8, v[28:29]
	s_or_b32 s10, vcc_lo, s10
	s_wait_loadcnt 0x1
	v_max_num_f64_e64 v[32:33], |v[32:33]|, |v[32:33]|
	s_wait_loadcnt 0x0
	v_max_num_f64_e64 v[34:35], |v[34:35]|, |v[34:35]|
	s_delay_alu instid0(VALU_DEP_1) | instskip(NEXT) | instid1(VALU_DEP_1)
	v_max_num_f64_e32 v[32:33], v[34:35], v[32:33]
	v_max_num_f64_e32 v[2:3], v[2:3], v[32:33]
	s_and_not1_b32 exec_lo, exec_lo, s10
	s_cbranch_execnz .LBB22_28
; %bb.29:                               ;   in Loop: Header=BB22_7 Depth=1
	s_or_b32 exec_lo, exec_lo, s10
.LBB22_30:                              ;   in Loop: Header=BB22_7 Depth=1
	s_delay_alu instid0(SALU_CYCLE_1)
	s_or_b32 exec_lo, exec_lo, s3
	ds_store_b64 v60, v[2:3] offset:8
.LBB22_31:                              ;   in Loop: Header=BB22_7 Depth=1
	s_or_b32 exec_lo, exec_lo, s5
	s_wait_storecnt_dscnt 0x0
	s_barrier_signal -1
	s_barrier_wait -1
	ds_load_b64 v[2:3], v60 offset:8
	ds_load_2addr_b32 v[4:5], v60 offset0:4 offset1:8
	s_wait_dscnt 0x1
	v_cmp_eq_f64_e32 vcc_lo, 0, v[2:3]
	s_wait_dscnt 0x0
	v_cmp_eq_u32_e64 s3, v5, v4
	s_or_b32 s3, s3, vcc_lo
	s_delay_alu instid0(SALU_CYCLE_1)
	s_and_b32 vcc_lo, exec_lo, s3
	s_cbranch_vccnz .LBB22_6
; %bb.32:                               ;   in Loop: Header=BB22_7 Depth=1
	v_cmp_nlt_f64_e32 vcc_lo, s[44:45], v[2:3]
	s_mov_b32 s3, -1
	s_cbranch_vccz .LBB22_41
; %bb.33:                               ;   in Loop: Header=BB22_7 Depth=1
	v_cmp_ngt_f64_e32 vcc_lo, s[26:27], v[2:3]
	s_cbranch_vccnz .LBB22_40
; %bb.34:                               ;   in Loop: Header=BB22_7 Depth=1
	v_div_scale_f64 v[4:5], null, s[26:27], s[26:27], v[2:3]
	s_delay_alu instid0(VALU_DEP_1) | instskip(SKIP_1) | instid1(TRANS32_DEP_1)
	v_rcp_f64_e32 v[28:29], v[4:5]
	v_nop
	v_fma_f64 v[30:31], -v[4:5], v[28:29], 1.0
	s_delay_alu instid0(VALU_DEP_1) | instskip(NEXT) | instid1(VALU_DEP_1)
	v_fmac_f64_e32 v[28:29], v[28:29], v[30:31]
	v_fma_f64 v[30:31], -v[4:5], v[28:29], 1.0
	s_delay_alu instid0(VALU_DEP_1) | instskip(SKIP_1) | instid1(VALU_DEP_1)
	v_fmac_f64_e32 v[28:29], v[28:29], v[30:31]
	v_div_scale_f64 v[30:31], vcc_lo, v[2:3], s[26:27], v[2:3]
	v_mul_f64_e32 v[32:33], v[30:31], v[28:29]
	s_delay_alu instid0(VALU_DEP_1) | instskip(NEXT) | instid1(VALU_DEP_1)
	v_fma_f64 v[4:5], -v[4:5], v[32:33], v[30:31]
	v_div_fmas_f64 v[4:5], v[4:5], v[28:29], v[32:33]
	ds_load_2addr_b32 v[28:29], v60 offset0:7 offset1:10
	v_div_fixup_f64 v[4:5], v[4:5], s[26:27], v[2:3]
	s_and_saveexec_b32 s3, s4
	s_cbranch_execz .LBB22_36
; %bb.35:                               ;   in Loop: Header=BB22_7 Depth=1
	s_wait_dscnt 0x0
	global_load_b64 v[30:31], v29, s[18:19] scale_offset
	s_wait_loadcnt 0x0
	v_mul_f64_e32 v[30:31], v[4:5], v[30:31]
	global_store_b64 v29, v[30:31], s[18:19] scale_offset
.LBB22_36:                              ;   in Loop: Header=BB22_7 Depth=1
	s_wait_xcnt 0x0
	s_or_b32 exec_lo, exec_lo, s3
	s_wait_dscnt 0x0
	v_add_nc_u32_e32 v30, v28, v6
	s_mov_b32 s3, exec_lo
	s_delay_alu instid0(VALU_DEP_1)
	v_cmpx_lt_i32_e64 v30, v29
	s_cbranch_execz .LBB22_39
; %bb.37:                               ;   in Loop: Header=BB22_7 Depth=1
	v_ashrrev_i32_e32 v31, 31, v30
	s_mov_b32 s5, 0
	s_delay_alu instid0(VALU_DEP_1)
	v_lshlrev_b64_e32 v[32:33], 3, v[30:31]
.LBB22_38:                              ;   Parent Loop BB22_7 Depth=1
                                        ; =>  This Inner Loop Header: Depth=2
	s_delay_alu instid0(VALU_DEP_1)
	v_add_nc_u64_e32 v[34:35], s[18:19], v[32:33]
	v_add_nc_u64_e32 v[38:39], s[46:47], v[32:33]
	;; [unrolled: 1-line block ×3, first 2 shown]
	v_add_nc_u32_e32 v30, s36, v30
	global_load_b64 v[36:37], v[34:35], off
	v_cmp_ge_i32_e32 vcc_lo, v30, v29
	s_or_b32 s5, vcc_lo, s5
	s_wait_loadcnt 0x0
	v_mul_f64_e32 v[36:37], v[4:5], v[36:37]
	global_store_b64 v[34:35], v[36:37], off
	global_load_b64 v[34:35], v[38:39], off
	s_wait_loadcnt 0x0
	v_mul_f64_e32 v[34:35], v[4:5], v[34:35]
	global_store_b64 v[38:39], v[34:35], off
	s_wait_xcnt 0x0
	s_and_not1_b32 exec_lo, exec_lo, s5
	s_cbranch_execnz .LBB22_38
.LBB22_39:                              ;   in Loop: Header=BB22_7 Depth=1
	s_or_b32 exec_lo, exec_lo, s3
.LBB22_40:                              ;   in Loop: Header=BB22_7 Depth=1
	s_mov_b32 s3, 0
.LBB22_41:                              ;   in Loop: Header=BB22_7 Depth=1
	s_delay_alu instid0(SALU_CYCLE_1)
	s_and_not1_b32 vcc_lo, exec_lo, s3
	s_cbranch_vccnz .LBB22_48
; %bb.42:                               ;   in Loop: Header=BB22_7 Depth=1
	v_div_scale_f64 v[4:5], null, s[44:45], s[44:45], v[2:3]
	s_delay_alu instid0(VALU_DEP_1) | instskip(SKIP_1) | instid1(TRANS32_DEP_1)
	v_rcp_f64_e32 v[28:29], v[4:5]
	v_nop
	v_fma_f64 v[30:31], -v[4:5], v[28:29], 1.0
	s_delay_alu instid0(VALU_DEP_1) | instskip(NEXT) | instid1(VALU_DEP_1)
	v_fmac_f64_e32 v[28:29], v[28:29], v[30:31]
	v_fma_f64 v[30:31], -v[4:5], v[28:29], 1.0
	s_delay_alu instid0(VALU_DEP_1) | instskip(SKIP_1) | instid1(VALU_DEP_1)
	v_fmac_f64_e32 v[28:29], v[28:29], v[30:31]
	v_div_scale_f64 v[30:31], vcc_lo, v[2:3], s[44:45], v[2:3]
	v_mul_f64_e32 v[32:33], v[30:31], v[28:29]
	s_delay_alu instid0(VALU_DEP_1) | instskip(NEXT) | instid1(VALU_DEP_1)
	v_fma_f64 v[4:5], -v[4:5], v[32:33], v[30:31]
	v_div_fmas_f64 v[4:5], v[4:5], v[28:29], v[32:33]
	s_delay_alu instid0(VALU_DEP_1)
	v_div_fixup_f64 v[2:3], v[4:5], s[44:45], v[2:3]
	ds_load_2addr_b32 v[4:5], v60 offset0:7 offset1:10
	s_and_saveexec_b32 s3, s4
	s_cbranch_execz .LBB22_44
; %bb.43:                               ;   in Loop: Header=BB22_7 Depth=1
	s_wait_dscnt 0x0
	global_load_b64 v[28:29], v5, s[18:19] scale_offset
	s_wait_loadcnt 0x0
	v_mul_f64_e32 v[28:29], v[2:3], v[28:29]
	global_store_b64 v5, v[28:29], s[18:19] scale_offset
.LBB22_44:                              ;   in Loop: Header=BB22_7 Depth=1
	s_wait_xcnt 0x0
	s_or_b32 exec_lo, exec_lo, s3
	s_wait_dscnt 0x0
	v_add_nc_u32_e32 v28, v4, v6
	s_mov_b32 s3, exec_lo
	s_delay_alu instid0(VALU_DEP_1)
	v_cmpx_lt_i32_e64 v28, v5
	s_cbranch_execz .LBB22_47
; %bb.45:                               ;   in Loop: Header=BB22_7 Depth=1
	v_ashrrev_i32_e32 v29, 31, v28
	s_mov_b32 s5, 0
	s_delay_alu instid0(VALU_DEP_1)
	v_lshlrev_b64_e32 v[30:31], 3, v[28:29]
.LBB22_46:                              ;   Parent Loop BB22_7 Depth=1
                                        ; =>  This Inner Loop Header: Depth=2
	s_delay_alu instid0(VALU_DEP_1)
	v_add_nc_u64_e32 v[32:33], s[18:19], v[30:31]
	v_add_nc_u64_e32 v[36:37], s[46:47], v[30:31]
	;; [unrolled: 1-line block ×3, first 2 shown]
	v_add_nc_u32_e32 v28, s36, v28
	global_load_b64 v[34:35], v[32:33], off
	v_cmp_ge_i32_e32 vcc_lo, v28, v5
	s_or_b32 s5, vcc_lo, s5
	s_wait_loadcnt 0x0
	v_mul_f64_e32 v[34:35], v[2:3], v[34:35]
	global_store_b64 v[32:33], v[34:35], off
	global_load_b64 v[32:33], v[36:37], off
	s_wait_loadcnt 0x0
	v_mul_f64_e32 v[32:33], v[2:3], v[32:33]
	global_store_b64 v[36:37], v[32:33], off
	s_wait_xcnt 0x0
	s_and_not1_b32 exec_lo, exec_lo, s5
	s_cbranch_execnz .LBB22_46
.LBB22_47:                              ;   in Loop: Header=BB22_7 Depth=1
	s_or_b32 exec_lo, exec_lo, s3
.LBB22_48:                              ;   in Loop: Header=BB22_7 Depth=1
	s_wait_storecnt 0x0
	s_barrier_signal -1
	s_barrier_wait -1
	ds_load_b64 v[30:31], v60 offset:32
	ds_load_b32 v28, v60 offset:16
	s_mov_b32 s10, -1
                                        ; implicit-def: $vgpr34_vgpr35
                                        ; implicit-def: $vgpr32_vgpr33
                                        ; implicit-def: $vgpr29
	s_wait_dscnt 0x1
	v_cmp_gt_i32_e64 s3, s30, v31
	s_wait_dscnt 0x0
	v_cmp_lt_i32_e32 vcc_lo, v30, v28
	s_delay_alu instid0(VALU_DEP_2) | instskip(NEXT) | instid1(VALU_DEP_1)
	v_cndmask_b32_e64 v2, 0, 1, s3
	v_cmp_ne_u32_e64 s5, 1, v2
	s_cbranch_vccnz .LBB22_51
; %bb.49:                               ;   in Loop: Header=BB22_7 Depth=1
	v_mov_b64_e32 v[34:35], v[18:19]
	v_mov_b64_e32 v[32:33], v[16:17]
	v_dual_mov_b32 v29, v7 :: v_dual_mov_b32 v43, v31
	v_dual_mov_b32 v42, v30 :: v_dual_mov_b32 v36, v28
	s_and_b32 vcc_lo, exec_lo, s5
	s_cbranch_vccz .LBB22_151
.LBB22_50:                              ;   in Loop: Header=BB22_7 Depth=1
	s_mov_b32 s10, 0
.LBB22_51:                              ;   in Loop: Header=BB22_7 Depth=1
	s_delay_alu instid0(SALU_CYCLE_1)
	s_and_not1_b32 vcc_lo, exec_lo, s10
	s_cbranch_vccz .LBB22_68
; %bb.52:                               ;   in Loop: Header=BB22_7 Depth=1
	v_mov_b64_e32 v[16:17], v[32:33]
	v_mov_b64_e32 v[18:19], v[34:35]
	v_mov_b32_e32 v7, v29
.LBB22_53:                              ;   in Loop: Header=BB22_7 Depth=1
	s_barrier_signal -1
	s_barrier_wait -1
	ds_load_b64 v[2:3], v60 offset:8
	s_wait_dscnt 0x0
	v_cmp_nlt_f64_e32 vcc_lo, s[44:45], v[2:3]
	s_cbranch_vccnz .LBB22_60
; %bb.54:                               ;   in Loop: Header=BB22_7 Depth=1
	v_div_scale_f64 v[4:5], null, v[2:3], v[2:3], s[44:45]
	s_delay_alu instid0(VALU_DEP_1) | instskip(SKIP_1) | instid1(TRANS32_DEP_1)
	v_rcp_f64_e32 v[28:29], v[4:5]
	v_nop
	v_fma_f64 v[30:31], -v[4:5], v[28:29], 1.0
	s_delay_alu instid0(VALU_DEP_1) | instskip(NEXT) | instid1(VALU_DEP_1)
	v_fmac_f64_e32 v[28:29], v[28:29], v[30:31]
	v_fma_f64 v[30:31], -v[4:5], v[28:29], 1.0
	s_delay_alu instid0(VALU_DEP_1) | instskip(SKIP_1) | instid1(VALU_DEP_1)
	v_fmac_f64_e32 v[28:29], v[28:29], v[30:31]
	v_div_scale_f64 v[30:31], vcc_lo, s[44:45], v[2:3], s[44:45]
	v_mul_f64_e32 v[32:33], v[30:31], v[28:29]
	s_delay_alu instid0(VALU_DEP_1) | instskip(NEXT) | instid1(VALU_DEP_1)
	v_fma_f64 v[4:5], -v[4:5], v[32:33], v[30:31]
	v_div_fmas_f64 v[4:5], v[4:5], v[28:29], v[32:33]
	ds_load_2addr_b32 v[28:29], v60 offset0:7 offset1:10
	v_div_fixup_f64 v[4:5], v[4:5], v[2:3], s[44:45]
	s_and_saveexec_b32 s3, s4
	s_cbranch_execz .LBB22_56
; %bb.55:                               ;   in Loop: Header=BB22_7 Depth=1
	s_wait_dscnt 0x0
	global_load_b64 v[30:31], v29, s[18:19] scale_offset
	s_wait_loadcnt 0x0
	v_mul_f64_e32 v[30:31], v[4:5], v[30:31]
	global_store_b64 v29, v[30:31], s[18:19] scale_offset
.LBB22_56:                              ;   in Loop: Header=BB22_7 Depth=1
	s_wait_xcnt 0x0
	s_or_b32 exec_lo, exec_lo, s3
	s_wait_dscnt 0x0
	v_add_nc_u32_e32 v30, v28, v6
	s_mov_b32 s3, exec_lo
	s_delay_alu instid0(VALU_DEP_1)
	v_cmpx_lt_i32_e64 v30, v29
	s_cbranch_execz .LBB22_59
; %bb.57:                               ;   in Loop: Header=BB22_7 Depth=1
	v_ashrrev_i32_e32 v31, 31, v30
	s_mov_b32 s5, 0
	s_delay_alu instid0(VALU_DEP_1)
	v_lshlrev_b64_e32 v[32:33], 3, v[30:31]
.LBB22_58:                              ;   Parent Loop BB22_7 Depth=1
                                        ; =>  This Inner Loop Header: Depth=2
	s_delay_alu instid0(VALU_DEP_1)
	v_add_nc_u64_e32 v[34:35], s[18:19], v[32:33]
	v_add_nc_u64_e32 v[38:39], s[46:47], v[32:33]
	;; [unrolled: 1-line block ×3, first 2 shown]
	v_add_nc_u32_e32 v30, s36, v30
	global_load_b64 v[36:37], v[34:35], off
	v_cmp_ge_i32_e32 vcc_lo, v30, v29
	s_or_b32 s5, vcc_lo, s5
	s_wait_loadcnt 0x0
	v_mul_f64_e32 v[36:37], v[4:5], v[36:37]
	global_store_b64 v[34:35], v[36:37], off
	global_load_b64 v[34:35], v[38:39], off
	s_wait_loadcnt 0x0
	v_mul_f64_e32 v[34:35], v[4:5], v[34:35]
	global_store_b64 v[38:39], v[34:35], off
	s_wait_xcnt 0x0
	s_and_not1_b32 exec_lo, exec_lo, s5
	s_cbranch_execnz .LBB22_58
.LBB22_59:                              ;   in Loop: Header=BB22_7 Depth=1
	s_or_b32 exec_lo, exec_lo, s3
.LBB22_60:                              ;   in Loop: Header=BB22_7 Depth=1
	v_cmp_ngt_f64_e32 vcc_lo, s[26:27], v[2:3]
	s_cbranch_vccnz .LBB22_5
; %bb.61:                               ;   in Loop: Header=BB22_7 Depth=1
	v_div_scale_f64 v[4:5], null, v[2:3], v[2:3], s[26:27]
	s_delay_alu instid0(VALU_DEP_1) | instskip(SKIP_1) | instid1(TRANS32_DEP_1)
	v_rcp_f64_e32 v[28:29], v[4:5]
	v_nop
	v_fma_f64 v[30:31], -v[4:5], v[28:29], 1.0
	s_delay_alu instid0(VALU_DEP_1) | instskip(NEXT) | instid1(VALU_DEP_1)
	v_fmac_f64_e32 v[28:29], v[28:29], v[30:31]
	v_fma_f64 v[30:31], -v[4:5], v[28:29], 1.0
	s_delay_alu instid0(VALU_DEP_1) | instskip(SKIP_1) | instid1(VALU_DEP_1)
	v_fmac_f64_e32 v[28:29], v[28:29], v[30:31]
	v_div_scale_f64 v[30:31], vcc_lo, s[26:27], v[2:3], s[26:27]
	v_mul_f64_e32 v[32:33], v[30:31], v[28:29]
	s_delay_alu instid0(VALU_DEP_1) | instskip(NEXT) | instid1(VALU_DEP_1)
	v_fma_f64 v[4:5], -v[4:5], v[32:33], v[30:31]
	v_div_fmas_f64 v[4:5], v[4:5], v[28:29], v[32:33]
	s_delay_alu instid0(VALU_DEP_1)
	v_div_fixup_f64 v[2:3], v[4:5], v[2:3], s[26:27]
	ds_load_2addr_b32 v[4:5], v60 offset0:7 offset1:10
	s_and_saveexec_b32 s3, s4
	s_cbranch_execz .LBB22_63
; %bb.62:                               ;   in Loop: Header=BB22_7 Depth=1
	s_wait_dscnt 0x0
	global_load_b64 v[28:29], v5, s[18:19] scale_offset
	s_wait_loadcnt 0x0
	v_mul_f64_e32 v[28:29], v[2:3], v[28:29]
	global_store_b64 v5, v[28:29], s[18:19] scale_offset
.LBB22_63:                              ;   in Loop: Header=BB22_7 Depth=1
	s_wait_xcnt 0x0
	s_or_b32 exec_lo, exec_lo, s3
	s_wait_dscnt 0x0
	v_add_nc_u32_e32 v28, v4, v6
	s_mov_b32 s3, exec_lo
	s_delay_alu instid0(VALU_DEP_1)
	v_cmpx_lt_i32_e64 v28, v5
	s_cbranch_execz .LBB22_4
; %bb.64:                               ;   in Loop: Header=BB22_7 Depth=1
	v_ashrrev_i32_e32 v29, 31, v28
	s_mov_b32 s5, 0
	s_delay_alu instid0(VALU_DEP_1)
	v_lshlrev_b64_e32 v[30:31], 3, v[28:29]
.LBB22_65:                              ;   Parent Loop BB22_7 Depth=1
                                        ; =>  This Inner Loop Header: Depth=2
	s_delay_alu instid0(VALU_DEP_1)
	v_add_nc_u64_e32 v[32:33], s[18:19], v[30:31]
	v_add_nc_u64_e32 v[36:37], s[46:47], v[30:31]
	;; [unrolled: 1-line block ×3, first 2 shown]
	v_add_nc_u32_e32 v28, s36, v28
	global_load_b64 v[34:35], v[32:33], off
	v_cmp_ge_i32_e32 vcc_lo, v28, v5
	s_or_b32 s5, vcc_lo, s5
	s_wait_loadcnt 0x0
	v_mul_f64_e32 v[34:35], v[2:3], v[34:35]
	global_store_b64 v[32:33], v[34:35], off
	global_load_b64 v[32:33], v[36:37], off
	s_wait_loadcnt 0x0
	v_mul_f64_e32 v[32:33], v[2:3], v[32:33]
	global_store_b64 v[36:37], v[32:33], off
	s_wait_xcnt 0x0
	s_and_not1_b32 exec_lo, exec_lo, s5
	s_cbranch_execnz .LBB22_65
	s_branch .LBB22_4
.LBB22_66:                              ;   in Loop: Header=BB22_68 Depth=2
	s_or_b32 exec_lo, exec_lo, s3
	s_wait_storecnt 0x0
	s_barrier_signal -1
	s_barrier_wait -1
	ds_load_b32 v28, v60 offset:16
.LBB22_67:                              ;   in Loop: Header=BB22_68 Depth=2
	ds_load_b64 v[30:31], v60 offset:32
	s_wait_dscnt 0x0
	v_cmp_ge_i32_e32 vcc_lo, v28, v30
	v_cmp_gt_i32_e64 s3, s30, v31
	s_and_b32 s3, vcc_lo, s3
.LBB22_68:                              ;   Parent Loop BB22_7 Depth=1
                                        ; =>  This Loop Header: Depth=2
                                        ;       Child Loop BB22_75 Depth 3
                                        ;       Child Loop BB22_95 Depth 3
                                        ;       Child Loop BB22_146 Depth 3
                                        ;         Child Loop BB22_147 Depth 4
	s_delay_alu instid0(SALU_CYCLE_1)
	s_and_not1_b32 vcc_lo, exec_lo, s3
	s_cbranch_vccnz .LBB22_53
; %bb.69:                               ;   in Loop: Header=BB22_68 Depth=2
	s_and_saveexec_b32 s5, s4
	s_cbranch_execz .LBB22_142
; %bb.70:                               ;   in Loop: Header=BB22_68 Depth=2
	v_cmp_gt_i32_e32 vcc_lo, v28, v30
	s_mov_b32 s3, 0
	s_cbranch_vccnz .LBB22_72
; %bb.71:                               ;   in Loop: Header=BB22_68 Depth=2
	v_ashrrev_i32_e32 v29, 31, v28
	s_mov_b32 s10, -1
	s_delay_alu instid0(VALU_DEP_1)
	v_mov_b64_e32 v[36:37], v[28:29]
	v_mov_b32_e32 v32, v28
	s_cbranch_execz .LBB22_73
	s_branch .LBB22_78
.LBB22_72:                              ;   in Loop: Header=BB22_68 Depth=2
	s_mov_b32 s10, 0
                                        ; implicit-def: $vgpr36_vgpr37
	v_mov_b32_e32 v32, v28
.LBB22_73:                              ;   in Loop: Header=BB22_68 Depth=2
	v_dual_mov_b32 v4, v28 :: v_dual_ashrrev_i32 v29, 31, v28
	s_delay_alu instid0(VALU_DEP_1) | instskip(NEXT) | instid1(VALU_DEP_1)
	v_lshlrev_b64_e32 v[2:3], 3, v[28:29]
	v_add_nc_u64_e32 v[14:15], s[46:47], v[2:3]
	v_add_nc_u64_e32 v[2:3], s[74:75], v[2:3]
	s_branch .LBB22_75
.LBB22_74:                              ;   in Loop: Header=BB22_75 Depth=3
	v_add_nc_u32_e32 v4, -1, v61
	v_add_nc_u64_e32 v[2:3], -8, v[2:3]
	s_mov_b32 s3, 0
	s_delay_alu instid0(VALU_DEP_2)
	v_cmp_le_i32_e64 s10, v4, v30
	v_add_nc_u64_e32 v[14:15], -8, v[14:15]
	s_and_not1_b32 vcc_lo, exec_lo, s10
	s_cbranch_vccz .LBB22_77
.LBB22_75:                              ;   Parent Loop BB22_7 Depth=1
                                        ;     Parent Loop BB22_68 Depth=2
                                        ; =>    This Inner Loop Header: Depth=3
	global_load_b128 v[32:35], v[2:3], off
	global_load_b64 v[20:21], v[14:15], off offset:-8
	s_wait_loadcnt 0x1
	v_dual_mul_f64 v[32:33], v[34:35], v[32:33] :: v_dual_mov_b32 v61, v4
	s_wait_loadcnt 0x0
	v_mul_f64_e32 v[20:21], v[20:21], v[20:21]
	s_delay_alu instid0(VALU_DEP_2) | instskip(NEXT) | instid1(VALU_DEP_1)
	v_mul_f64_e64 v[32:33], v[8:9], |v[32:33]|
	v_cmp_le_f64_e64 s3, |v[20:21]|, v[32:33]
	s_and_b32 vcc_lo, exec_lo, s3
	s_cbranch_vccz .LBB22_74
; %bb.76:                               ;   in Loop: Header=BB22_68 Depth=2
	s_mov_b32 s3, -1
                                        ; implicit-def: $vgpr4
                                        ; implicit-def: $vgpr2_vgpr3
	v_add_nc_u64_e32 v[14:15], -8, v[14:15]
.LBB22_77:                              ;   in Loop: Header=BB22_68 Depth=2
	v_mov_b64_e32 v[20:21], v[28:29]
	v_mov_b64_e32 v[36:37], v[28:29]
	v_mov_b32_e32 v32, v30
	s_xor_b32 s10, s3, -1
	s_mov_b32 s3, -1
.LBB22_78:                              ;   in Loop: Header=BB22_68 Depth=2
	s_and_b32 vcc_lo, exec_lo, s10
	s_cbranch_vccnz .LBB22_107
; %bb.79:                               ;   in Loop: Header=BB22_68 Depth=2
	s_and_not1_b32 vcc_lo, exec_lo, s3
	s_cbranch_vccnz .LBB22_81
.LBB22_80:                              ;   in Loop: Header=BB22_68 Depth=2
	v_mov_b64_e32 v[36:37], v[20:21]
	v_mov_b32_e32 v32, v61
	ds_store_2addr_b32 v60, v61, v28 offset0:5 offset1:7
	global_store_b64 v[14:15], v[12:13], off
.LBB22_81:                              ;   in Loop: Header=BB22_68 Depth=2
	v_lshl_add_u64 v[34:35], v[36:37], 3, s[18:19]
	v_add_nc_u32_e32 v2, -1, v28
	s_mov_b32 s3, exec_lo
	global_load_b64 v[40:41], v[34:35], off
	s_wait_loadcnt 0x0
	ds_store_b64 v60, v[40:41]
	s_wait_xcnt 0x0
	v_cmpx_ne_u32_e64 v32, v28
	s_xor_b32 s10, exec_lo, s3
	s_cbranch_execz .LBB22_139
; %bb.82:                               ;   in Loop: Header=BB22_68 Depth=2
	s_mov_b32 s3, exec_lo
	v_cmpx_ne_u32_e64 v32, v2
	s_xor_b32 s3, exec_lo, s3
	s_cbranch_execz .LBB22_111
; %bb.83:                               ;   in Loop: Header=BB22_68 Depth=2
	v_lshl_add_u64 v[2:3], v[36:37], 3, s[46:47]
	s_mov_b32 s31, exec_lo
	global_load_b64 v[4:5], v[34:35], off offset:-8
	global_load_b64 v[36:37], v[2:3], off offset:-8
	global_load_b64 v[38:39], v32, s[18:19] scale_offset
	s_wait_loadcnt 0x2
	v_add_f64_e64 v[4:5], v[4:5], -v[40:41]
	s_wait_loadcnt 0x1
	v_add_f64_e32 v[42:43], v[36:37], v[36:37]
	s_delay_alu instid0(VALU_DEP_1) | instskip(SKIP_1) | instid1(VALU_DEP_2)
	v_div_scale_f64 v[44:45], null, v[42:43], v[42:43], v[4:5]
	v_div_scale_f64 v[50:51], vcc_lo, v[4:5], v[42:43], v[4:5]
	v_rcp_f64_e32 v[46:47], v[44:45]
	v_nop
	s_delay_alu instid0(TRANS32_DEP_1) | instskip(NEXT) | instid1(VALU_DEP_1)
	v_fma_f64 v[48:49], -v[44:45], v[46:47], 1.0
	v_fmac_f64_e32 v[46:47], v[46:47], v[48:49]
	s_delay_alu instid0(VALU_DEP_1) | instskip(NEXT) | instid1(VALU_DEP_1)
	v_fma_f64 v[48:49], -v[44:45], v[46:47], 1.0
	v_fmac_f64_e32 v[46:47], v[46:47], v[48:49]
	s_delay_alu instid0(VALU_DEP_1) | instskip(NEXT) | instid1(VALU_DEP_1)
	v_mul_f64_e32 v[48:49], v[50:51], v[46:47]
	v_fma_f64 v[44:45], -v[44:45], v[48:49], v[50:51]
	s_delay_alu instid0(VALU_DEP_1) | instskip(NEXT) | instid1(VALU_DEP_1)
	v_div_fmas_f64 v[44:45], v[44:45], v[46:47], v[48:49]
	v_div_fixup_f64 v[4:5], v[44:45], v[42:43], v[4:5]
	s_delay_alu instid0(VALU_DEP_1) | instskip(NEXT) | instid1(VALU_DEP_1)
	v_fma_f64 v[42:43], v[4:5], v[4:5], 1.0
	v_cmp_gt_f64_e32 vcc_lo, 0x10000000, v[42:43]
	v_cndmask_b32_e64 v29, 0, 0x100, vcc_lo
	s_delay_alu instid0(VALU_DEP_1) | instskip(SKIP_1) | instid1(VALU_DEP_2)
	v_ldexp_f64 v[42:43], v[42:43], v29
	v_cndmask_b32_e64 v29, 0, 0xffffff80, vcc_lo
	v_rsq_f64_e32 v[44:45], v[42:43]
	v_cmp_class_f64_e64 vcc_lo, v[42:43], 0x260
	s_delay_alu instid0(TRANS32_DEP_1) | instskip(SKIP_1) | instid1(VALU_DEP_1)
	v_mul_f64_e32 v[46:47], v[42:43], v[44:45]
	v_mul_f64_e32 v[44:45], 0.5, v[44:45]
	v_fma_f64 v[48:49], -v[44:45], v[46:47], 0.5
	s_delay_alu instid0(VALU_DEP_1) | instskip(SKIP_1) | instid1(VALU_DEP_2)
	v_fmac_f64_e32 v[46:47], v[46:47], v[48:49]
	v_fmac_f64_e32 v[44:45], v[44:45], v[48:49]
	v_fma_f64 v[48:49], -v[46:47], v[46:47], v[42:43]
	s_delay_alu instid0(VALU_DEP_1) | instskip(NEXT) | instid1(VALU_DEP_1)
	v_fmac_f64_e32 v[46:47], v[48:49], v[44:45]
	v_fma_f64 v[48:49], -v[46:47], v[46:47], v[42:43]
	s_delay_alu instid0(VALU_DEP_1) | instskip(NEXT) | instid1(VALU_DEP_1)
	v_fmac_f64_e32 v[46:47], v[48:49], v[44:45]
	v_ldexp_f64 v[44:45], v[46:47], v29
	s_delay_alu instid0(VALU_DEP_1) | instskip(NEXT) | instid1(VALU_DEP_1)
	v_cndmask_b32_e32 v29, v45, v43, vcc_lo
	v_and_b32_e32 v30, 0x7fffffff, v29
	v_or_b32_e32 v29, 0x80000000, v29
	s_delay_alu instid0(VALU_DEP_4) | instskip(SKIP_1) | instid1(VALU_DEP_3)
	v_cndmask_b32_e32 v42, v44, v42, vcc_lo
	v_cmp_nle_f64_e32 vcc_lo, 0, v[4:5]
	v_dual_cndmask_b32 v43, v30, v29, vcc_lo :: v_dual_add_nc_u32 v29, 1, v31
	ds_store_b32 v60, v29 offset:36
	ds_store_b64 v60, v[12:13]
	v_add_f64_e32 v[4:5], v[4:5], v[42:43]
	s_delay_alu instid0(VALU_DEP_1) | instskip(NEXT) | instid1(VALU_DEP_1)
	v_div_scale_f64 v[42:43], null, v[4:5], v[4:5], v[36:37]
	v_rcp_f64_e32 v[44:45], v[42:43]
	v_nop
	s_delay_alu instid0(TRANS32_DEP_1) | instskip(NEXT) | instid1(VALU_DEP_1)
	v_fma_f64 v[46:47], -v[42:43], v[44:45], 1.0
	v_fmac_f64_e32 v[44:45], v[44:45], v[46:47]
	s_delay_alu instid0(VALU_DEP_1) | instskip(NEXT) | instid1(VALU_DEP_1)
	v_fma_f64 v[46:47], -v[42:43], v[44:45], 1.0
	v_fmac_f64_e32 v[44:45], v[44:45], v[46:47]
	v_div_scale_f64 v[46:47], vcc_lo, v[36:37], v[4:5], v[36:37]
	s_delay_alu instid0(VALU_DEP_1) | instskip(NEXT) | instid1(VALU_DEP_1)
	v_mul_f64_e32 v[48:49], v[46:47], v[44:45]
	v_fma_f64 v[42:43], -v[42:43], v[48:49], v[46:47]
	s_delay_alu instid0(VALU_DEP_1) | instskip(SKIP_2) | instid1(VALU_DEP_2)
	v_div_fmas_f64 v[42:43], v[42:43], v[44:45], v[48:49]
	s_wait_loadcnt 0x0
	v_add_f64_e64 v[44:45], v[38:39], -v[40:41]
	v_div_fixup_f64 v[4:5], v[42:43], v[4:5], v[36:37]
	v_mov_b64_e32 v[36:37], 0
	s_delay_alu instid0(VALU_DEP_2)
	v_add_f64_e32 v[4:5], v[44:45], v[4:5]
	s_wait_xcnt 0x0
	v_cmpx_lt_i32_e64 v32, v28
	s_cbranch_execz .LBB22_110
; %bb.84:                               ;   in Loop: Header=BB22_68 Depth=2
	v_ashrrev_i32_e32 v33, 31, v32
	v_mov_b64_e32 v[42:43], 0
	s_mov_b32 s33, exec_lo
	s_delay_alu instid0(VALU_DEP_2)
	v_lshl_add_u64 v[30:31], v[32:33], 3, s[46:47]
	global_load_b64 v[40:41], v[30:31], off
	s_wait_xcnt 0x0
	v_mov_b64_e32 v[30:31], 1.0
	s_wait_loadcnt 0x0
	v_cmpx_neq_f64_e32 0, v[40:41]
	s_cbranch_execz .LBB22_92
; %bb.85:                               ;   in Loop: Header=BB22_68 Depth=2
	v_mov_b64_e32 v[30:31], 0
	v_mov_b64_e32 v[42:43], 1.0
	s_mov_b32 s37, exec_lo
	v_cmpx_neq_f64_e32 0, v[4:5]
	s_cbranch_execz .LBB22_91
; %bb.86:                               ;   in Loop: Header=BB22_68 Depth=2
	v_cmp_ngt_f64_e64 s39, |v[40:41]|, |v[4:5]|
                                        ; implicit-def: $vgpr42_vgpr43
                                        ; implicit-def: $vgpr30_vgpr31
	s_and_saveexec_b32 s76, s39
	s_delay_alu instid0(SALU_CYCLE_1)
	s_xor_b32 s39, exec_lo, s76
	s_cbranch_execz .LBB22_88
; %bb.87:                               ;   in Loop: Header=BB22_68 Depth=2
	v_div_scale_f64 v[30:31], null, v[4:5], v[4:5], -v[40:41]
	v_div_scale_f64 v[44:45], vcc_lo, -v[40:41], v[4:5], -v[40:41]
	s_delay_alu instid0(VALU_DEP_2) | instskip(SKIP_1) | instid1(TRANS32_DEP_1)
	v_rcp_f64_e32 v[36:37], v[30:31]
	v_nop
	v_fma_f64 v[42:43], -v[30:31], v[36:37], 1.0
	s_delay_alu instid0(VALU_DEP_1) | instskip(NEXT) | instid1(VALU_DEP_1)
	v_fmac_f64_e32 v[36:37], v[36:37], v[42:43]
	v_fma_f64 v[42:43], -v[30:31], v[36:37], 1.0
	s_delay_alu instid0(VALU_DEP_1) | instskip(NEXT) | instid1(VALU_DEP_1)
	v_fmac_f64_e32 v[36:37], v[36:37], v[42:43]
	v_mul_f64_e32 v[42:43], v[44:45], v[36:37]
	s_delay_alu instid0(VALU_DEP_1) | instskip(NEXT) | instid1(VALU_DEP_1)
	v_fma_f64 v[30:31], -v[30:31], v[42:43], v[44:45]
	v_div_fmas_f64 v[30:31], v[30:31], v[36:37], v[42:43]
	s_delay_alu instid0(VALU_DEP_1) | instskip(NEXT) | instid1(VALU_DEP_1)
	v_div_fixup_f64 v[4:5], v[30:31], v[4:5], -v[40:41]
	v_fma_f64 v[30:31], v[4:5], v[4:5], 1.0
	s_delay_alu instid0(VALU_DEP_1) | instskip(SKIP_1) | instid1(VALU_DEP_1)
	v_cmp_gt_f64_e32 vcc_lo, 0x10000000, v[30:31]
	v_cndmask_b32_e64 v29, 0, 0x100, vcc_lo
	v_ldexp_f64 v[30:31], v[30:31], v29
	v_cndmask_b32_e64 v29, 0, 0xffffff80, vcc_lo
	s_delay_alu instid0(VALU_DEP_2) | instskip(SKIP_1) | instid1(TRANS32_DEP_1)
	v_rsq_f64_e32 v[36:37], v[30:31]
	v_cmp_class_f64_e64 vcc_lo, v[30:31], 0x260
	v_mul_f64_e32 v[42:43], v[30:31], v[36:37]
	v_mul_f64_e32 v[36:37], 0.5, v[36:37]
	s_delay_alu instid0(VALU_DEP_1) | instskip(NEXT) | instid1(VALU_DEP_1)
	v_fma_f64 v[44:45], -v[36:37], v[42:43], 0.5
	v_fmac_f64_e32 v[42:43], v[42:43], v[44:45]
	v_fmac_f64_e32 v[36:37], v[36:37], v[44:45]
	s_delay_alu instid0(VALU_DEP_2) | instskip(NEXT) | instid1(VALU_DEP_1)
	v_fma_f64 v[44:45], -v[42:43], v[42:43], v[30:31]
	v_fmac_f64_e32 v[42:43], v[44:45], v[36:37]
	s_delay_alu instid0(VALU_DEP_1) | instskip(NEXT) | instid1(VALU_DEP_1)
	v_fma_f64 v[44:45], -v[42:43], v[42:43], v[30:31]
	v_fmac_f64_e32 v[42:43], v[44:45], v[36:37]
	s_delay_alu instid0(VALU_DEP_1) | instskip(NEXT) | instid1(VALU_DEP_1)
	v_ldexp_f64 v[36:37], v[42:43], v29
	v_dual_cndmask_b32 v31, v37, v31 :: v_dual_cndmask_b32 v30, v36, v30
	s_delay_alu instid0(VALU_DEP_1) | instskip(NEXT) | instid1(VALU_DEP_1)
	v_div_scale_f64 v[36:37], null, v[30:31], v[30:31], 1.0
	v_rcp_f64_e32 v[42:43], v[36:37]
	v_nop
	s_delay_alu instid0(TRANS32_DEP_1) | instskip(NEXT) | instid1(VALU_DEP_1)
	v_fma_f64 v[44:45], -v[36:37], v[42:43], 1.0
	v_fmac_f64_e32 v[42:43], v[42:43], v[44:45]
	s_delay_alu instid0(VALU_DEP_1) | instskip(NEXT) | instid1(VALU_DEP_1)
	v_fma_f64 v[44:45], -v[36:37], v[42:43], 1.0
	v_fmac_f64_e32 v[42:43], v[42:43], v[44:45]
	v_div_scale_f64 v[44:45], vcc_lo, 1.0, v[30:31], 1.0
	s_delay_alu instid0(VALU_DEP_1) | instskip(NEXT) | instid1(VALU_DEP_1)
	v_mul_f64_e32 v[46:47], v[44:45], v[42:43]
	v_fma_f64 v[36:37], -v[36:37], v[46:47], v[44:45]
	s_delay_alu instid0(VALU_DEP_1) | instskip(NEXT) | instid1(VALU_DEP_1)
	v_div_fmas_f64 v[36:37], v[36:37], v[42:43], v[46:47]
	v_div_fixup_f64 v[30:31], v[36:37], v[30:31], 1.0
	s_delay_alu instid0(VALU_DEP_1)
	v_mul_f64_e32 v[42:43], v[4:5], v[30:31]
                                        ; implicit-def: $vgpr4_vgpr5
.LBB22_88:                              ;   in Loop: Header=BB22_68 Depth=2
	s_and_not1_saveexec_b32 s39, s39
	s_cbranch_execz .LBB22_90
; %bb.89:                               ;   in Loop: Header=BB22_68 Depth=2
	v_div_scale_f64 v[30:31], null, v[40:41], v[40:41], -v[4:5]
	v_div_scale_f64 v[44:45], vcc_lo, -v[4:5], v[40:41], -v[4:5]
	s_delay_alu instid0(VALU_DEP_2) | instskip(SKIP_1) | instid1(TRANS32_DEP_1)
	v_rcp_f64_e32 v[36:37], v[30:31]
	v_nop
	v_fma_f64 v[42:43], -v[30:31], v[36:37], 1.0
	s_delay_alu instid0(VALU_DEP_1) | instskip(NEXT) | instid1(VALU_DEP_1)
	v_fmac_f64_e32 v[36:37], v[36:37], v[42:43]
	v_fma_f64 v[42:43], -v[30:31], v[36:37], 1.0
	s_delay_alu instid0(VALU_DEP_1) | instskip(NEXT) | instid1(VALU_DEP_1)
	v_fmac_f64_e32 v[36:37], v[36:37], v[42:43]
	v_mul_f64_e32 v[42:43], v[44:45], v[36:37]
	s_delay_alu instid0(VALU_DEP_1) | instskip(NEXT) | instid1(VALU_DEP_1)
	v_fma_f64 v[30:31], -v[30:31], v[42:43], v[44:45]
	v_div_fmas_f64 v[30:31], v[30:31], v[36:37], v[42:43]
	s_delay_alu instid0(VALU_DEP_1) | instskip(NEXT) | instid1(VALU_DEP_1)
	v_div_fixup_f64 v[4:5], v[30:31], v[40:41], -v[4:5]
	v_fma_f64 v[30:31], v[4:5], v[4:5], 1.0
	s_delay_alu instid0(VALU_DEP_1) | instskip(SKIP_1) | instid1(VALU_DEP_1)
	v_cmp_gt_f64_e32 vcc_lo, 0x10000000, v[30:31]
	v_cndmask_b32_e64 v29, 0, 0x100, vcc_lo
	v_ldexp_f64 v[30:31], v[30:31], v29
	v_cndmask_b32_e64 v29, 0, 0xffffff80, vcc_lo
	s_delay_alu instid0(VALU_DEP_2) | instskip(SKIP_1) | instid1(TRANS32_DEP_1)
	v_rsq_f64_e32 v[36:37], v[30:31]
	v_cmp_class_f64_e64 vcc_lo, v[30:31], 0x260
	v_mul_f64_e32 v[42:43], v[30:31], v[36:37]
	v_mul_f64_e32 v[36:37], 0.5, v[36:37]
	s_delay_alu instid0(VALU_DEP_1) | instskip(NEXT) | instid1(VALU_DEP_1)
	v_fma_f64 v[44:45], -v[36:37], v[42:43], 0.5
	v_fmac_f64_e32 v[42:43], v[42:43], v[44:45]
	v_fmac_f64_e32 v[36:37], v[36:37], v[44:45]
	s_delay_alu instid0(VALU_DEP_2) | instskip(NEXT) | instid1(VALU_DEP_1)
	v_fma_f64 v[44:45], -v[42:43], v[42:43], v[30:31]
	v_fmac_f64_e32 v[42:43], v[44:45], v[36:37]
	s_delay_alu instid0(VALU_DEP_1) | instskip(NEXT) | instid1(VALU_DEP_1)
	v_fma_f64 v[44:45], -v[42:43], v[42:43], v[30:31]
	v_fmac_f64_e32 v[42:43], v[44:45], v[36:37]
	s_delay_alu instid0(VALU_DEP_1) | instskip(NEXT) | instid1(VALU_DEP_1)
	v_ldexp_f64 v[36:37], v[42:43], v29
	v_dual_cndmask_b32 v31, v37, v31 :: v_dual_cndmask_b32 v30, v36, v30
	s_delay_alu instid0(VALU_DEP_1) | instskip(NEXT) | instid1(VALU_DEP_1)
	v_div_scale_f64 v[36:37], null, v[30:31], v[30:31], 1.0
	v_rcp_f64_e32 v[42:43], v[36:37]
	v_nop
	s_delay_alu instid0(TRANS32_DEP_1) | instskip(NEXT) | instid1(VALU_DEP_1)
	v_fma_f64 v[44:45], -v[36:37], v[42:43], 1.0
	v_fmac_f64_e32 v[42:43], v[42:43], v[44:45]
	s_delay_alu instid0(VALU_DEP_1) | instskip(NEXT) | instid1(VALU_DEP_1)
	v_fma_f64 v[44:45], -v[36:37], v[42:43], 1.0
	v_fmac_f64_e32 v[42:43], v[42:43], v[44:45]
	v_div_scale_f64 v[44:45], vcc_lo, 1.0, v[30:31], 1.0
	s_delay_alu instid0(VALU_DEP_1) | instskip(NEXT) | instid1(VALU_DEP_1)
	v_mul_f64_e32 v[46:47], v[44:45], v[42:43]
	v_fma_f64 v[36:37], -v[36:37], v[46:47], v[44:45]
	s_delay_alu instid0(VALU_DEP_1) | instskip(NEXT) | instid1(VALU_DEP_1)
	v_div_fmas_f64 v[36:37], v[36:37], v[42:43], v[46:47]
	v_div_fixup_f64 v[42:43], v[36:37], v[30:31], 1.0
	s_delay_alu instid0(VALU_DEP_1)
	v_mul_f64_e32 v[30:31], v[4:5], v[42:43]
.LBB22_90:                              ;   in Loop: Header=BB22_68 Depth=2
	s_or_b32 exec_lo, exec_lo, s39
.LBB22_91:                              ;   in Loop: Header=BB22_68 Depth=2
	s_delay_alu instid0(SALU_CYCLE_1)
	s_or_b32 exec_lo, exec_lo, s37
.LBB22_92:                              ;   in Loop: Header=BB22_68 Depth=2
	s_delay_alu instid0(SALU_CYCLE_1) | instskip(SKIP_1) | instid1(VALU_DEP_2)
	s_or_b32 exec_lo, exec_lo, s33
	v_lshl_add_u64 v[44:45], v[32:33], 3, s[18:19]
	v_add_f64_e32 v[36:37], v[30:31], v[30:31]
	s_delay_alu instid0(VALU_DEP_3) | instskip(SKIP_1) | instid1(VALU_DEP_4)
	v_xor_b32_e32 v51, 0x80000000, v43
	s_mov_b32 s33, exec_lo
	v_mov_b32_e32 v50, v42
	global_load_b64 v[4:5], v[44:45], off offset:8
	s_wait_loadcnt 0x0
	v_add_f64_e64 v[4:5], v[4:5], -v[38:39]
	s_delay_alu instid0(VALU_DEP_1) | instskip(NEXT) | instid1(VALU_DEP_1)
	v_mul_f64_e32 v[4:5], v[42:43], v[4:5]
	v_fma_f64 v[4:5], v[40:41], v[36:37], -v[4:5]
	s_delay_alu instid0(VALU_DEP_1) | instskip(SKIP_4) | instid1(VALU_DEP_2)
	v_mul_f64_e64 v[36:37], v[4:5], -v[42:43]
	v_fma_f64 v[46:47], v[4:5], -v[42:43], v[38:39]
	v_fma_f64 v[4:5], v[30:31], v[4:5], -v[40:41]
	v_lshl_add_u64 v[40:41], v[32:33], 3, s[50:51]
	v_add_nc_u32_e32 v38, 1, v32
	v_lshl_add_u64 v[42:43], s[6:7], 3, v[40:41]
	ds_store_b64 v60, v[36:37]
	global_store_b64 v[44:45], v[46:47], off
	s_clause 0x1
	global_store_b64 v[40:41], v[30:31], off
	global_store_b64 v[42:43], v[50:51], off offset:-8
	s_wait_xcnt 0x0
	v_cmpx_lt_i32_e64 v38, v28
	s_cbranch_execz .LBB22_109
; %bb.93:                               ;   in Loop: Header=BB22_68 Depth=2
	v_ashrrev_i32_e32 v39, 31, v38
	s_mov_b32 s39, 1
	s_mov_b32 s37, 0
	s_delay_alu instid0(VALU_DEP_1) | instskip(NEXT) | instid1(VALU_DEP_1)
	v_lshlrev_b64_e32 v[42:43], 3, v[38:39]
	v_add_nc_u64_e32 v[38:39], s[50:51], v[42:43]
	v_add_nc_u64_e32 v[40:41], s[62:63], v[42:43]
	;; [unrolled: 1-line block ×3, first 2 shown]
	s_branch .LBB22_95
.LBB22_94:                              ;   in Loop: Header=BB22_95 Depth=3
	global_load_b128 v[52:55], v[42:43], off
	v_mul_f64_e32 v[30:31], v[30:31], v[44:45]
	v_add_f64_e32 v[44:45], v[48:49], v[48:49]
	s_add_co_i32 s39, s39, 1
	s_wait_xcnt 0x1
	v_add_nc_u64_e32 v[40:41], 8, v[40:41]
	v_add_nc_u32_e32 v29, s39, v32
	s_delay_alu instid0(VALU_DEP_1) | instskip(SKIP_3) | instid1(VALU_DEP_1)
	v_cmp_ge_i32_e32 vcc_lo, v29, v28
	s_or_b32 s37, vcc_lo, s37
	s_wait_loadcnt 0x0
	v_add_f64_e64 v[4:5], v[52:53], -v[36:37]
	v_add_f64_e64 v[36:37], v[54:55], -v[4:5]
	s_delay_alu instid0(VALU_DEP_1) | instskip(NEXT) | instid1(VALU_DEP_1)
	v_mul_f64_e32 v[36:37], v[50:51], v[36:37]
	v_fma_f64 v[44:45], v[30:31], v[44:45], -v[36:37]
	s_delay_alu instid0(VALU_DEP_1)
	v_fma_f64 v[46:47], v[44:45], -v[50:51], v[4:5]
	v_mul_f64_e64 v[36:37], v[44:45], -v[50:51]
	v_fma_f64 v[4:5], v[48:49], v[44:45], -v[30:31]
	v_add_nc_u64_e32 v[30:31], 8, v[42:43]
	v_add_nc_u64_e32 v[44:45], s[64:65], v[38:39]
	v_xor_b32_e32 v51, 0x80000000, v51
	global_store_b64 v[42:43], v[46:47], off
	global_store_b64 v[38:39], v[48:49], off
	s_wait_xcnt 0x0
	v_add_nc_u64_e32 v[38:39], 8, v[38:39]
	v_mov_b64_e32 v[42:43], v[30:31]
	v_mov_b64_e32 v[30:31], v[48:49]
	global_store_b64 v[44:45], v[50:51], off
	s_wait_xcnt 0x0
	s_and_not1_b32 exec_lo, exec_lo, s37
	s_cbranch_execz .LBB22_108
.LBB22_95:                              ;   Parent Loop BB22_7 Depth=1
                                        ;     Parent Loop BB22_68 Depth=2
                                        ; =>    This Inner Loop Header: Depth=3
	global_load_b64 v[44:45], v[40:41], off offset:8
	v_mov_b64_e32 v[48:49], 1.0
	s_mov_b32 s76, exec_lo
	s_wait_loadcnt 0x0
	v_mul_f64_e32 v[46:47], v[50:51], v[44:45]
	v_mov_b64_e32 v[50:51], 0
	s_wait_xcnt 0x0
	s_delay_alu instid0(VALU_DEP_2)
	v_cmpx_neq_f64_e32 0, v[46:47]
	s_cbranch_execz .LBB22_105
; %bb.96:                               ;   in Loop: Header=BB22_95 Depth=3
	v_xor_b32_e32 v53, 0x80000000, v47
	v_mov_b32_e32 v52, v46
	s_mov_b32 s78, exec_lo
                                        ; implicit-def: $vgpr50_vgpr51
                                        ; implicit-def: $vgpr48_vgpr49
	v_cmpx_neq_f64_e32 0, v[4:5]
	s_xor_b32 s78, exec_lo, s78
	s_cbranch_execz .LBB22_102
; %bb.97:                               ;   in Loop: Header=BB22_95 Depth=3
	v_cmp_ngt_f64_e64 s79, |v[46:47]|, |v[4:5]|
                                        ; implicit-def: $vgpr50_vgpr51
                                        ; implicit-def: $vgpr48_vgpr49
	s_and_saveexec_b32 s80, s79
	s_delay_alu instid0(SALU_CYCLE_1)
	s_xor_b32 s79, exec_lo, s80
	s_cbranch_execz .LBB22_99
; %bb.98:                               ;   in Loop: Header=BB22_95 Depth=3
	v_div_scale_f64 v[48:49], null, v[4:5], v[4:5], -v[46:47]
	v_div_scale_f64 v[54:55], vcc_lo, -v[46:47], v[4:5], -v[46:47]
	s_delay_alu instid0(VALU_DEP_2) | instskip(SKIP_1) | instid1(TRANS32_DEP_1)
	v_rcp_f64_e32 v[50:51], v[48:49]
	v_nop
	v_fma_f64 v[52:53], -v[48:49], v[50:51], 1.0
	s_delay_alu instid0(VALU_DEP_1) | instskip(NEXT) | instid1(VALU_DEP_1)
	v_fmac_f64_e32 v[50:51], v[50:51], v[52:53]
	v_fma_f64 v[52:53], -v[48:49], v[50:51], 1.0
	s_delay_alu instid0(VALU_DEP_1) | instskip(NEXT) | instid1(VALU_DEP_1)
	v_fmac_f64_e32 v[50:51], v[50:51], v[52:53]
	v_mul_f64_e32 v[52:53], v[54:55], v[50:51]
	s_delay_alu instid0(VALU_DEP_1) | instskip(NEXT) | instid1(VALU_DEP_1)
	v_fma_f64 v[48:49], -v[48:49], v[52:53], v[54:55]
	v_div_fmas_f64 v[48:49], v[48:49], v[50:51], v[52:53]
	s_delay_alu instid0(VALU_DEP_1) | instskip(NEXT) | instid1(VALU_DEP_1)
	v_div_fixup_f64 v[50:51], v[48:49], v[4:5], -v[46:47]
	v_fma_f64 v[48:49], v[50:51], v[50:51], 1.0
	s_delay_alu instid0(VALU_DEP_1) | instskip(SKIP_1) | instid1(VALU_DEP_1)
	v_cmp_gt_f64_e32 vcc_lo, 0x10000000, v[48:49]
	v_cndmask_b32_e64 v29, 0, 0x100, vcc_lo
	v_ldexp_f64 v[48:49], v[48:49], v29
	v_cndmask_b32_e64 v29, 0, 0xffffff80, vcc_lo
	s_delay_alu instid0(VALU_DEP_2) | instskip(SKIP_1) | instid1(TRANS32_DEP_1)
	v_rsq_f64_e32 v[52:53], v[48:49]
	v_cmp_class_f64_e64 vcc_lo, v[48:49], 0x260
	v_mul_f64_e32 v[54:55], v[48:49], v[52:53]
	v_mul_f64_e32 v[52:53], 0.5, v[52:53]
	s_delay_alu instid0(VALU_DEP_1) | instskip(NEXT) | instid1(VALU_DEP_1)
	v_fma_f64 v[56:57], -v[52:53], v[54:55], 0.5
	v_fmac_f64_e32 v[54:55], v[54:55], v[56:57]
	v_fmac_f64_e32 v[52:53], v[52:53], v[56:57]
	s_delay_alu instid0(VALU_DEP_2) | instskip(NEXT) | instid1(VALU_DEP_1)
	v_fma_f64 v[56:57], -v[54:55], v[54:55], v[48:49]
	v_fmac_f64_e32 v[54:55], v[56:57], v[52:53]
	s_delay_alu instid0(VALU_DEP_1) | instskip(NEXT) | instid1(VALU_DEP_1)
	v_fma_f64 v[56:57], -v[54:55], v[54:55], v[48:49]
	v_fmac_f64_e32 v[54:55], v[56:57], v[52:53]
	s_delay_alu instid0(VALU_DEP_1) | instskip(NEXT) | instid1(VALU_DEP_1)
	v_ldexp_f64 v[52:53], v[54:55], v29
	v_dual_cndmask_b32 v49, v53, v49 :: v_dual_cndmask_b32 v48, v52, v48
	s_delay_alu instid0(VALU_DEP_1) | instskip(NEXT) | instid1(VALU_DEP_1)
	v_div_scale_f64 v[52:53], null, v[48:49], v[48:49], 1.0
	v_rcp_f64_e32 v[54:55], v[52:53]
	v_nop
	s_delay_alu instid0(TRANS32_DEP_1) | instskip(NEXT) | instid1(VALU_DEP_1)
	v_fma_f64 v[56:57], -v[52:53], v[54:55], 1.0
	v_fmac_f64_e32 v[54:55], v[54:55], v[56:57]
	s_delay_alu instid0(VALU_DEP_1) | instskip(NEXT) | instid1(VALU_DEP_1)
	v_fma_f64 v[56:57], -v[52:53], v[54:55], 1.0
	v_fmac_f64_e32 v[54:55], v[54:55], v[56:57]
	v_div_scale_f64 v[56:57], vcc_lo, 1.0, v[48:49], 1.0
	s_delay_alu instid0(VALU_DEP_1) | instskip(NEXT) | instid1(VALU_DEP_1)
	v_mul_f64_e32 v[58:59], v[56:57], v[54:55]
	v_fma_f64 v[52:53], -v[52:53], v[58:59], v[56:57]
	s_delay_alu instid0(VALU_DEP_1) | instskip(NEXT) | instid1(VALU_DEP_1)
	v_div_fmas_f64 v[52:53], v[52:53], v[54:55], v[58:59]
	v_div_fixup_f64 v[48:49], v[52:53], v[48:49], 1.0
	s_delay_alu instid0(VALU_DEP_1)
	v_mul_f64_e32 v[50:51], v[50:51], v[48:49]
.LBB22_99:                              ;   in Loop: Header=BB22_95 Depth=3
	s_and_not1_saveexec_b32 s79, s79
	s_cbranch_execz .LBB22_101
; %bb.100:                              ;   in Loop: Header=BB22_95 Depth=3
	v_div_scale_f64 v[48:49], null, v[46:47], v[46:47], -v[4:5]
	v_div_scale_f64 v[54:55], vcc_lo, -v[4:5], v[46:47], -v[4:5]
	s_delay_alu instid0(VALU_DEP_2) | instskip(SKIP_1) | instid1(TRANS32_DEP_1)
	v_rcp_f64_e32 v[50:51], v[48:49]
	v_nop
	v_fma_f64 v[52:53], -v[48:49], v[50:51], 1.0
	s_delay_alu instid0(VALU_DEP_1) | instskip(NEXT) | instid1(VALU_DEP_1)
	v_fmac_f64_e32 v[50:51], v[50:51], v[52:53]
	v_fma_f64 v[52:53], -v[48:49], v[50:51], 1.0
	s_delay_alu instid0(VALU_DEP_1) | instskip(NEXT) | instid1(VALU_DEP_1)
	v_fmac_f64_e32 v[50:51], v[50:51], v[52:53]
	v_mul_f64_e32 v[52:53], v[54:55], v[50:51]
	s_delay_alu instid0(VALU_DEP_1) | instskip(NEXT) | instid1(VALU_DEP_1)
	v_fma_f64 v[48:49], -v[48:49], v[52:53], v[54:55]
	v_div_fmas_f64 v[48:49], v[48:49], v[50:51], v[52:53]
	s_delay_alu instid0(VALU_DEP_1) | instskip(NEXT) | instid1(VALU_DEP_1)
	v_div_fixup_f64 v[48:49], v[48:49], v[46:47], -v[4:5]
	v_fma_f64 v[50:51], v[48:49], v[48:49], 1.0
	s_delay_alu instid0(VALU_DEP_1) | instskip(SKIP_1) | instid1(VALU_DEP_1)
	v_cmp_gt_f64_e32 vcc_lo, 0x10000000, v[50:51]
	v_cndmask_b32_e64 v29, 0, 0x100, vcc_lo
	v_ldexp_f64 v[50:51], v[50:51], v29
	v_cndmask_b32_e64 v29, 0, 0xffffff80, vcc_lo
	s_delay_alu instid0(VALU_DEP_2) | instskip(SKIP_1) | instid1(TRANS32_DEP_1)
	v_rsq_f64_e32 v[52:53], v[50:51]
	v_cmp_class_f64_e64 vcc_lo, v[50:51], 0x260
	v_mul_f64_e32 v[54:55], v[50:51], v[52:53]
	v_mul_f64_e32 v[52:53], 0.5, v[52:53]
	s_delay_alu instid0(VALU_DEP_1) | instskip(NEXT) | instid1(VALU_DEP_1)
	v_fma_f64 v[56:57], -v[52:53], v[54:55], 0.5
	v_fmac_f64_e32 v[54:55], v[54:55], v[56:57]
	v_fmac_f64_e32 v[52:53], v[52:53], v[56:57]
	s_delay_alu instid0(VALU_DEP_2) | instskip(NEXT) | instid1(VALU_DEP_1)
	v_fma_f64 v[56:57], -v[54:55], v[54:55], v[50:51]
	v_fmac_f64_e32 v[54:55], v[56:57], v[52:53]
	s_delay_alu instid0(VALU_DEP_1) | instskip(NEXT) | instid1(VALU_DEP_1)
	v_fma_f64 v[56:57], -v[54:55], v[54:55], v[50:51]
	v_fmac_f64_e32 v[54:55], v[56:57], v[52:53]
	s_delay_alu instid0(VALU_DEP_1) | instskip(NEXT) | instid1(VALU_DEP_1)
	v_ldexp_f64 v[52:53], v[54:55], v29
	v_dual_cndmask_b32 v51, v53, v51 :: v_dual_cndmask_b32 v50, v52, v50
	s_delay_alu instid0(VALU_DEP_1) | instskip(NEXT) | instid1(VALU_DEP_1)
	v_div_scale_f64 v[52:53], null, v[50:51], v[50:51], 1.0
	v_rcp_f64_e32 v[54:55], v[52:53]
	v_nop
	s_delay_alu instid0(TRANS32_DEP_1) | instskip(NEXT) | instid1(VALU_DEP_1)
	v_fma_f64 v[56:57], -v[52:53], v[54:55], 1.0
	v_fmac_f64_e32 v[54:55], v[54:55], v[56:57]
	s_delay_alu instid0(VALU_DEP_1) | instskip(NEXT) | instid1(VALU_DEP_1)
	v_fma_f64 v[56:57], -v[52:53], v[54:55], 1.0
	v_fmac_f64_e32 v[54:55], v[54:55], v[56:57]
	v_div_scale_f64 v[56:57], vcc_lo, 1.0, v[50:51], 1.0
	s_delay_alu instid0(VALU_DEP_1) | instskip(NEXT) | instid1(VALU_DEP_1)
	v_mul_f64_e32 v[58:59], v[56:57], v[54:55]
	v_fma_f64 v[52:53], -v[52:53], v[58:59], v[56:57]
	s_delay_alu instid0(VALU_DEP_1) | instskip(NEXT) | instid1(VALU_DEP_1)
	v_div_fmas_f64 v[52:53], v[52:53], v[54:55], v[58:59]
	v_div_fixup_f64 v[50:51], v[52:53], v[50:51], 1.0
	s_delay_alu instid0(VALU_DEP_1)
	v_mul_f64_e32 v[48:49], v[48:49], v[50:51]
.LBB22_101:                             ;   in Loop: Header=BB22_95 Depth=3
	s_or_b32 exec_lo, exec_lo, s79
	s_delay_alu instid0(VALU_DEP_1) | instskip(NEXT) | instid1(VALU_DEP_1)
	v_mul_f64_e32 v[46:47], v[46:47], v[50:51]
	v_fma_f64 v[52:53], v[4:5], v[48:49], -v[46:47]
.LBB22_102:                             ;   in Loop: Header=BB22_95 Depth=3
	s_and_not1_saveexec_b32 s78, s78
; %bb.103:                              ;   in Loop: Header=BB22_95 Depth=3
	v_mov_b64_e32 v[48:49], 0
	v_mov_b64_e32 v[50:51], 1.0
; %bb.104:                              ;   in Loop: Header=BB22_95 Depth=3
	s_or_b32 exec_lo, exec_lo, s78
	s_delay_alu instid0(VALU_DEP_3)
	v_mov_b64_e32 v[4:5], v[52:53]
.LBB22_105:                             ;   in Loop: Header=BB22_95 Depth=3
	s_or_b32 exec_lo, exec_lo, s76
	s_cmp_eq_u32 s39, 0
	s_cbranch_scc1 .LBB22_94
; %bb.106:                              ;   in Loop: Header=BB22_95 Depth=3
	global_store_b64 v[40:41], v[4:5], off
	s_branch .LBB22_94
.LBB22_107:                             ;   in Loop: Header=BB22_68 Depth=2
	ds_store_2addr_b32 v60, v32, v28 offset0:5 offset1:7
	s_cbranch_execz .LBB22_80
	s_branch .LBB22_81
.LBB22_108:                             ;   in Loop: Header=BB22_68 Depth=2
	s_or_b32 exec_lo, exec_lo, s37
	ds_store_b64 v60, v[36:37]
.LBB22_109:                             ;   in Loop: Header=BB22_68 Depth=2
	s_or_b32 exec_lo, exec_lo, s33
	global_load_b64 v[40:41], v[34:35], off
.LBB22_110:                             ;   in Loop: Header=BB22_68 Depth=2
	s_wait_xcnt 0x0
	s_or_b32 exec_lo, exec_lo, s31
	s_wait_loadcnt 0x0
	v_add_f64_e64 v[28:29], v[40:41], -v[36:37]
                                        ; implicit-def: $vgpr32
                                        ; implicit-def: $vgpr36_vgpr37
                                        ; implicit-def: $vgpr40_vgpr41
	global_store_b64 v[34:35], v[28:29], off
	global_store_b64 v[2:3], v[4:5], off offset:-8
                                        ; implicit-def: $vgpr34_vgpr35
                                        ; implicit-def: $vgpr28
.LBB22_111:                             ;   in Loop: Header=BB22_68 Depth=2
	s_wait_xcnt 0x0
	s_and_not1_saveexec_b32 s31, s3
	s_cbranch_execz .LBB22_148
; %bb.112:                              ;   in Loop: Header=BB22_68 Depth=2
	s_clause 0x1
	global_load_b64 v[2:3], v32, s[18:19] scale_offset
	global_load_b64 v[42:43], v32, s[46:47] scale_offset
                                        ; implicit-def: $vgpr44_vgpr45
	s_wait_loadcnt 0x1
	v_add_f64_e64 v[38:39], v[2:3], -v[40:41]
	s_wait_loadcnt 0x0
	v_add_f64_e32 v[30:31], v[42:43], v[42:43]
	s_delay_alu instid0(VALU_DEP_1) | instskip(SKIP_2) | instid1(SALU_CYCLE_1)
	v_cmp_ngt_f64_e64 s3, |v[38:39]|, |v[30:31]|
	s_wait_xcnt 0x0
	s_and_saveexec_b32 s33, s3
	s_xor_b32 s3, exec_lo, s33
	s_cbranch_execz .LBB22_118
; %bb.113:                              ;   in Loop: Header=BB22_68 Depth=2
	v_cmp_nlt_f64_e64 s33, |v[38:39]|, |v[30:31]|
                                        ; implicit-def: $vgpr44_vgpr45
	s_and_saveexec_b32 s37, s33
	s_delay_alu instid0(SALU_CYCLE_1)
	s_xor_b32 s33, exec_lo, s37
; %bb.114:                              ;   in Loop: Header=BB22_68 Depth=2
	v_mul_f64_e64 v[44:45], |v[30:31]|, s[66:67]
; %bb.115:                              ;   in Loop: Header=BB22_68 Depth=2
	s_and_not1_saveexec_b32 s33, s33
	s_cbranch_execz .LBB22_117
; %bb.116:                              ;   in Loop: Header=BB22_68 Depth=2
	v_and_b32_e32 v5, 0x7fffffff, v39
	v_dual_mov_b32 v4, v38 :: v_dual_mov_b32 v44, v30
	v_and_b32_e32 v45, 0x7fffffff, v31
	s_delay_alu instid0(VALU_DEP_1) | instskip(SKIP_1) | instid1(VALU_DEP_2)
	v_div_scale_f64 v[46:47], null, v[44:45], v[44:45], v[4:5]
	v_div_scale_f64 v[4:5], vcc_lo, v[4:5], v[44:45], v[4:5]
	v_rcp_f64_e32 v[48:49], v[46:47]
	v_nop
	s_delay_alu instid0(TRANS32_DEP_1) | instskip(NEXT) | instid1(VALU_DEP_1)
	v_fma_f64 v[50:51], -v[46:47], v[48:49], 1.0
	v_fmac_f64_e32 v[48:49], v[48:49], v[50:51]
	s_delay_alu instid0(VALU_DEP_1) | instskip(NEXT) | instid1(VALU_DEP_1)
	v_fma_f64 v[50:51], -v[46:47], v[48:49], 1.0
	v_fmac_f64_e32 v[48:49], v[48:49], v[50:51]
	s_delay_alu instid0(VALU_DEP_1) | instskip(NEXT) | instid1(VALU_DEP_1)
	v_mul_f64_e32 v[44:45], v[4:5], v[48:49]
	v_fma_f64 v[4:5], -v[46:47], v[44:45], v[4:5]
	s_delay_alu instid0(VALU_DEP_1) | instskip(NEXT) | instid1(VALU_DEP_1)
	v_div_fmas_f64 v[4:5], v[4:5], v[48:49], v[44:45]
	v_div_fixup_f64 v[4:5], v[4:5], |v[30:31]|, |v[38:39]|
	s_delay_alu instid0(VALU_DEP_1) | instskip(NEXT) | instid1(VALU_DEP_1)
	v_fma_f64 v[4:5], v[4:5], v[4:5], 1.0
	v_cmp_gt_f64_e32 vcc_lo, 0x10000000, v[4:5]
	v_cndmask_b32_e64 v29, 0, 0x100, vcc_lo
	s_delay_alu instid0(VALU_DEP_1) | instskip(SKIP_1) | instid1(VALU_DEP_2)
	v_ldexp_f64 v[4:5], v[4:5], v29
	v_cndmask_b32_e64 v29, 0, 0xffffff80, vcc_lo
	v_rsq_f64_e32 v[44:45], v[4:5]
	v_cmp_class_f64_e64 vcc_lo, v[4:5], 0x260
	s_delay_alu instid0(TRANS32_DEP_1) | instskip(SKIP_1) | instid1(VALU_DEP_1)
	v_mul_f64_e32 v[46:47], v[4:5], v[44:45]
	v_mul_f64_e32 v[44:45], 0.5, v[44:45]
	v_fma_f64 v[48:49], -v[44:45], v[46:47], 0.5
	s_delay_alu instid0(VALU_DEP_1) | instskip(SKIP_1) | instid1(VALU_DEP_2)
	v_fmac_f64_e32 v[46:47], v[46:47], v[48:49]
	v_fmac_f64_e32 v[44:45], v[44:45], v[48:49]
	v_fma_f64 v[48:49], -v[46:47], v[46:47], v[4:5]
	s_delay_alu instid0(VALU_DEP_1) | instskip(NEXT) | instid1(VALU_DEP_1)
	v_fmac_f64_e32 v[46:47], v[48:49], v[44:45]
	v_fma_f64 v[48:49], -v[46:47], v[46:47], v[4:5]
	s_delay_alu instid0(VALU_DEP_1) | instskip(NEXT) | instid1(VALU_DEP_1)
	v_fmac_f64_e32 v[46:47], v[48:49], v[44:45]
	v_ldexp_f64 v[44:45], v[46:47], v29
	s_delay_alu instid0(VALU_DEP_1) | instskip(NEXT) | instid1(VALU_DEP_1)
	v_dual_cndmask_b32 v5, v45, v5 :: v_dual_cndmask_b32 v4, v44, v4
	v_mul_f64_e64 v[44:45], |v[30:31]|, v[4:5]
.LBB22_117:                             ;   in Loop: Header=BB22_68 Depth=2
	s_or_b32 exec_lo, exec_lo, s33
.LBB22_118:                             ;   in Loop: Header=BB22_68 Depth=2
	s_and_not1_saveexec_b32 s3, s3
	s_cbranch_execz .LBB22_120
; %bb.119:                              ;   in Loop: Header=BB22_68 Depth=2
	v_and_b32_e32 v5, 0x7fffffff, v31
	v_dual_mov_b32 v4, v30 :: v_dual_mov_b32 v44, v38
	v_and_b32_e32 v45, 0x7fffffff, v39
	s_delay_alu instid0(VALU_DEP_1) | instskip(SKIP_1) | instid1(VALU_DEP_2)
	v_div_scale_f64 v[46:47], null, v[44:45], v[44:45], v[4:5]
	v_div_scale_f64 v[4:5], vcc_lo, v[4:5], v[44:45], v[4:5]
	v_rcp_f64_e32 v[48:49], v[46:47]
	v_nop
	s_delay_alu instid0(TRANS32_DEP_1) | instskip(NEXT) | instid1(VALU_DEP_1)
	v_fma_f64 v[50:51], -v[46:47], v[48:49], 1.0
	v_fmac_f64_e32 v[48:49], v[48:49], v[50:51]
	s_delay_alu instid0(VALU_DEP_1) | instskip(NEXT) | instid1(VALU_DEP_1)
	v_fma_f64 v[50:51], -v[46:47], v[48:49], 1.0
	v_fmac_f64_e32 v[48:49], v[48:49], v[50:51]
	s_delay_alu instid0(VALU_DEP_1) | instskip(NEXT) | instid1(VALU_DEP_1)
	v_mul_f64_e32 v[44:45], v[4:5], v[48:49]
	v_fma_f64 v[4:5], -v[46:47], v[44:45], v[4:5]
	s_delay_alu instid0(VALU_DEP_1) | instskip(NEXT) | instid1(VALU_DEP_1)
	v_div_fmas_f64 v[4:5], v[4:5], v[48:49], v[44:45]
	v_div_fixup_f64 v[4:5], v[4:5], |v[38:39]|, |v[30:31]|
	s_delay_alu instid0(VALU_DEP_1) | instskip(NEXT) | instid1(VALU_DEP_1)
	v_fma_f64 v[4:5], v[4:5], v[4:5], 1.0
	v_cmp_gt_f64_e32 vcc_lo, 0x10000000, v[4:5]
	v_cndmask_b32_e64 v29, 0, 0x100, vcc_lo
	s_delay_alu instid0(VALU_DEP_1) | instskip(SKIP_1) | instid1(VALU_DEP_2)
	v_ldexp_f64 v[4:5], v[4:5], v29
	v_cndmask_b32_e64 v29, 0, 0xffffff80, vcc_lo
	v_rsq_f64_e32 v[44:45], v[4:5]
	v_cmp_class_f64_e64 vcc_lo, v[4:5], 0x260
	s_delay_alu instid0(TRANS32_DEP_1) | instskip(SKIP_1) | instid1(VALU_DEP_1)
	v_mul_f64_e32 v[46:47], v[4:5], v[44:45]
	v_mul_f64_e32 v[44:45], 0.5, v[44:45]
	v_fma_f64 v[48:49], -v[44:45], v[46:47], 0.5
	s_delay_alu instid0(VALU_DEP_1) | instskip(SKIP_1) | instid1(VALU_DEP_2)
	v_fmac_f64_e32 v[46:47], v[46:47], v[48:49]
	v_fmac_f64_e32 v[44:45], v[44:45], v[48:49]
	v_fma_f64 v[48:49], -v[46:47], v[46:47], v[4:5]
	s_delay_alu instid0(VALU_DEP_1) | instskip(NEXT) | instid1(VALU_DEP_1)
	v_fmac_f64_e32 v[46:47], v[48:49], v[44:45]
	v_fma_f64 v[48:49], -v[46:47], v[46:47], v[4:5]
	s_delay_alu instid0(VALU_DEP_1) | instskip(NEXT) | instid1(VALU_DEP_1)
	v_fmac_f64_e32 v[46:47], v[48:49], v[44:45]
	v_ldexp_f64 v[44:45], v[46:47], v29
	s_delay_alu instid0(VALU_DEP_1) | instskip(NEXT) | instid1(VALU_DEP_1)
	v_dual_cndmask_b32 v5, v45, v5 :: v_dual_cndmask_b32 v4, v44, v4
	v_mul_f64_e64 v[44:45], |v[38:39]|, v[4:5]
.LBB22_120:                             ;   in Loop: Header=BB22_68 Depth=2
	s_or_b32 exec_lo, exec_lo, s3
	v_cmp_gt_f64_e64 vcc_lo, |v[2:3]|, |v[40:41]|
	v_add_f64_e32 v[48:49], v[40:41], v[2:3]
	s_mov_b32 s33, exec_lo
	v_dual_cndmask_b32 v47, v3, v41 :: v_dual_cndmask_b32 v46, v2, v40
	v_dual_cndmask_b32 v41, v41, v3 :: v_dual_cndmask_b32 v40, v40, v2
                                        ; implicit-def: $vgpr4_vgpr5
	s_delay_alu instid0(VALU_DEP_3)
	v_cmpx_ngt_f64_e32 0, v[48:49]
	s_xor_b32 s33, exec_lo, s33
	s_cbranch_execz .LBB22_126
; %bb.121:                              ;   in Loop: Header=BB22_68 Depth=2
	s_mov_b32 s3, exec_lo
                                        ; implicit-def: $vgpr4_vgpr5
	v_cmpx_nlt_f64_e32 0, v[48:49]
	s_xor_b32 s3, exec_lo, s3
	s_cbranch_execz .LBB22_123
; %bb.122:                              ;   in Loop: Header=BB22_68 Depth=2
	v_mul_f64_e32 v[2:3], 0.5, v[44:45]
	v_mul_f64_e32 v[4:5], -0.5, v[44:45]
                                        ; implicit-def: $vgpr48_vgpr49
                                        ; implicit-def: $vgpr40_vgpr41
                                        ; implicit-def: $vgpr42_vgpr43
                                        ; implicit-def: $vgpr46_vgpr47
.LBB22_123:                             ;   in Loop: Header=BB22_68 Depth=2
	s_and_not1_saveexec_b32 s37, s3
	s_cbranch_execz .LBB22_125
; %bb.124:                              ;   in Loop: Header=BB22_68 Depth=2
	v_add_f64_e32 v[2:3], v[48:49], v[44:45]
	s_delay_alu instid0(VALU_DEP_1) | instskip(NEXT) | instid1(VALU_DEP_1)
	v_mul_f64_e32 v[2:3], 0.5, v[2:3]
	v_div_scale_f64 v[4:5], null, v[2:3], v[2:3], v[40:41]
	v_div_scale_f64 v[48:49], null, v[2:3], v[2:3], v[42:43]
	v_div_scale_f64 v[58:59], vcc_lo, v[40:41], v[2:3], v[40:41]
	s_delay_alu instid0(VALU_DEP_3) | instskip(NEXT) | instid1(VALU_DEP_2)
	v_rcp_f64_e32 v[50:51], v[4:5]
	v_rcp_f64_e32 v[52:53], v[48:49]
	s_delay_alu instid0(TRANS32_DEP_2) | instskip(NEXT) | instid1(TRANS32_DEP_1)
	v_fma_f64 v[54:55], -v[4:5], v[50:51], 1.0
	v_fma_f64 v[56:57], -v[48:49], v[52:53], 1.0
	s_delay_alu instid0(VALU_DEP_2) | instskip(NEXT) | instid1(VALU_DEP_2)
	v_fmac_f64_e32 v[50:51], v[50:51], v[54:55]
	v_fmac_f64_e32 v[52:53], v[52:53], v[56:57]
	s_delay_alu instid0(VALU_DEP_2) | instskip(NEXT) | instid1(VALU_DEP_2)
	v_fma_f64 v[54:55], -v[4:5], v[50:51], 1.0
	v_fma_f64 v[56:57], -v[48:49], v[52:53], 1.0
	s_delay_alu instid0(VALU_DEP_2) | instskip(SKIP_1) | instid1(VALU_DEP_3)
	v_fmac_f64_e32 v[50:51], v[50:51], v[54:55]
	v_div_scale_f64 v[54:55], s3, v[42:43], v[2:3], v[42:43]
	v_fmac_f64_e32 v[52:53], v[52:53], v[56:57]
	s_delay_alu instid0(VALU_DEP_3) | instskip(NEXT) | instid1(VALU_DEP_2)
	v_mul_f64_e32 v[56:57], v[58:59], v[50:51]
	v_mul_f64_e32 v[64:65], v[54:55], v[52:53]
	s_delay_alu instid0(VALU_DEP_2) | instskip(NEXT) | instid1(VALU_DEP_2)
	v_fma_f64 v[4:5], -v[4:5], v[56:57], v[58:59]
	v_fma_f64 v[48:49], -v[48:49], v[64:65], v[54:55]
	s_delay_alu instid0(VALU_DEP_2) | instskip(SKIP_1) | instid1(VALU_DEP_2)
	v_div_fmas_f64 v[4:5], v[4:5], v[50:51], v[56:57]
	s_mov_b32 vcc_lo, s3
	v_div_fmas_f64 v[48:49], v[48:49], v[52:53], v[64:65]
	s_delay_alu instid0(VALU_DEP_2) | instskip(NEXT) | instid1(VALU_DEP_2)
	v_div_fixup_f64 v[4:5], v[4:5], v[2:3], v[40:41]
	v_div_fixup_f64 v[48:49], v[48:49], v[2:3], v[42:43]
	s_delay_alu instid0(VALU_DEP_1) | instskip(NEXT) | instid1(VALU_DEP_1)
	v_mul_f64_e32 v[40:41], v[42:43], v[48:49]
	v_fma_f64 v[4:5], v[46:47], v[4:5], -v[40:41]
.LBB22_125:                             ;   in Loop: Header=BB22_68 Depth=2
	s_or_b32 exec_lo, exec_lo, s37
                                        ; implicit-def: $vgpr48_vgpr49
                                        ; implicit-def: $vgpr40_vgpr41
                                        ; implicit-def: $vgpr42_vgpr43
                                        ; implicit-def: $vgpr46_vgpr47
.LBB22_126:                             ;   in Loop: Header=BB22_68 Depth=2
	s_or_saveexec_b32 s33, s33
	v_mov_b32_e32 v29, 1
	s_xor_b32 exec_lo, exec_lo, s33
	s_cbranch_execz .LBB22_128
; %bb.127:                              ;   in Loop: Header=BB22_68 Depth=2
	v_dual_add_f64 v[2:3], v[48:49], -v[44:45] :: v_dual_mov_b32 v29, -1
	s_delay_alu instid0(VALU_DEP_1) | instskip(NEXT) | instid1(VALU_DEP_1)
	v_mul_f64_e32 v[2:3], 0.5, v[2:3]
	v_div_scale_f64 v[4:5], null, v[2:3], v[2:3], v[40:41]
	v_div_scale_f64 v[48:49], null, v[2:3], v[2:3], v[42:43]
	v_div_scale_f64 v[58:59], vcc_lo, v[40:41], v[2:3], v[40:41]
	s_delay_alu instid0(VALU_DEP_3) | instskip(NEXT) | instid1(VALU_DEP_2)
	v_rcp_f64_e32 v[50:51], v[4:5]
	v_rcp_f64_e32 v[52:53], v[48:49]
	s_delay_alu instid0(TRANS32_DEP_2) | instskip(NEXT) | instid1(TRANS32_DEP_1)
	v_fma_f64 v[54:55], -v[4:5], v[50:51], 1.0
	v_fma_f64 v[56:57], -v[48:49], v[52:53], 1.0
	s_delay_alu instid0(VALU_DEP_2) | instskip(NEXT) | instid1(VALU_DEP_2)
	v_fmac_f64_e32 v[50:51], v[50:51], v[54:55]
	v_fmac_f64_e32 v[52:53], v[52:53], v[56:57]
	s_delay_alu instid0(VALU_DEP_2) | instskip(NEXT) | instid1(VALU_DEP_2)
	v_fma_f64 v[54:55], -v[4:5], v[50:51], 1.0
	v_fma_f64 v[56:57], -v[48:49], v[52:53], 1.0
	s_delay_alu instid0(VALU_DEP_2) | instskip(SKIP_1) | instid1(VALU_DEP_3)
	v_fmac_f64_e32 v[50:51], v[50:51], v[54:55]
	v_div_scale_f64 v[54:55], s3, v[42:43], v[2:3], v[42:43]
	v_fmac_f64_e32 v[52:53], v[52:53], v[56:57]
	s_delay_alu instid0(VALU_DEP_3) | instskip(NEXT) | instid1(VALU_DEP_2)
	v_mul_f64_e32 v[56:57], v[58:59], v[50:51]
	v_mul_f64_e32 v[64:65], v[54:55], v[52:53]
	s_delay_alu instid0(VALU_DEP_2) | instskip(NEXT) | instid1(VALU_DEP_2)
	v_fma_f64 v[4:5], -v[4:5], v[56:57], v[58:59]
	v_fma_f64 v[48:49], -v[48:49], v[64:65], v[54:55]
	s_delay_alu instid0(VALU_DEP_2) | instskip(SKIP_1) | instid1(VALU_DEP_2)
	v_div_fmas_f64 v[4:5], v[4:5], v[50:51], v[56:57]
	s_mov_b32 vcc_lo, s3
	v_div_fmas_f64 v[48:49], v[48:49], v[52:53], v[64:65]
	s_delay_alu instid0(VALU_DEP_2) | instskip(NEXT) | instid1(VALU_DEP_2)
	v_div_fixup_f64 v[4:5], v[4:5], v[2:3], v[40:41]
	v_div_fixup_f64 v[48:49], v[48:49], v[2:3], v[42:43]
	s_delay_alu instid0(VALU_DEP_1) | instskip(NEXT) | instid1(VALU_DEP_1)
	v_mul_f64_e32 v[40:41], v[42:43], v[48:49]
	v_fma_f64 v[4:5], v[46:47], v[4:5], -v[40:41]
.LBB22_128:                             ;   in Loop: Header=BB22_68 Depth=2
	s_or_b32 exec_lo, exec_lo, s33
	s_delay_alu instid0(SALU_CYCLE_1)
	s_mov_b32 s3, exec_lo
                                        ; implicit-def: $vgpr40_vgpr41
	v_cmpx_le_f64_e32 0, v[38:39]
	s_xor_b32 s3, exec_lo, s3
; %bb.129:                              ;   in Loop: Header=BB22_68 Depth=2
	v_add_f64_e32 v[40:41], v[38:39], v[44:45]
                                        ; implicit-def: $vgpr44_vgpr45
                                        ; implicit-def: $vgpr38_vgpr39
; %bb.130:                              ;   in Loop: Header=BB22_68 Depth=2
	s_or_saveexec_b32 s3, s3
	v_mov_b32_e32 v46, 1
	s_xor_b32 exec_lo, exec_lo, s3
; %bb.131:                              ;   in Loop: Header=BB22_68 Depth=2
	v_dual_add_f64 v[40:41], v[38:39], -v[44:45] :: v_dual_mov_b32 v46, -1
; %bb.132:                              ;   in Loop: Header=BB22_68 Depth=2
	s_or_b32 exec_lo, exec_lo, s3
	s_delay_alu instid0(VALU_DEP_1) | instskip(SKIP_1) | instid1(SALU_CYCLE_1)
	v_cmp_ngt_f64_e64 s3, |v[40:41]|, |v[30:31]|
                                        ; implicit-def: $vgpr38_vgpr39
                                        ; implicit-def: $vgpr42_vgpr43
	s_and_saveexec_b32 s33, s3
	s_xor_b32 s3, exec_lo, s33
	s_cbranch_execz .LBB22_136
; %bb.133:                              ;   in Loop: Header=BB22_68 Depth=2
	v_mov_b64_e32 v[38:39], 0
	v_mov_b64_e32 v[42:43], 1.0
	s_mov_b32 s33, exec_lo
	v_cmpx_neq_f64_e32 0, v[30:31]
	s_cbranch_execz .LBB22_135
; %bb.134:                              ;   in Loop: Header=BB22_68 Depth=2
	v_div_scale_f64 v[38:39], null, v[30:31], v[30:31], -v[40:41]
	v_div_scale_f64 v[48:49], vcc_lo, -v[40:41], v[30:31], -v[40:41]
	s_delay_alu instid0(VALU_DEP_2) | instskip(SKIP_1) | instid1(TRANS32_DEP_1)
	v_rcp_f64_e32 v[42:43], v[38:39]
	v_nop
	v_fma_f64 v[44:45], -v[38:39], v[42:43], 1.0
	s_delay_alu instid0(VALU_DEP_1) | instskip(NEXT) | instid1(VALU_DEP_1)
	v_fmac_f64_e32 v[42:43], v[42:43], v[44:45]
	v_fma_f64 v[44:45], -v[38:39], v[42:43], 1.0
	s_delay_alu instid0(VALU_DEP_1) | instskip(NEXT) | instid1(VALU_DEP_1)
	v_fmac_f64_e32 v[42:43], v[42:43], v[44:45]
	v_mul_f64_e32 v[44:45], v[48:49], v[42:43]
	s_delay_alu instid0(VALU_DEP_1) | instskip(NEXT) | instid1(VALU_DEP_1)
	v_fma_f64 v[38:39], -v[38:39], v[44:45], v[48:49]
	v_div_fmas_f64 v[38:39], v[38:39], v[42:43], v[44:45]
	s_delay_alu instid0(VALU_DEP_1) | instskip(NEXT) | instid1(VALU_DEP_1)
	v_div_fixup_f64 v[30:31], v[38:39], v[30:31], -v[40:41]
	v_fma_f64 v[38:39], v[30:31], v[30:31], 1.0
	s_delay_alu instid0(VALU_DEP_1) | instskip(SKIP_1) | instid1(VALU_DEP_1)
	v_cmp_gt_f64_e32 vcc_lo, 0x10000000, v[38:39]
	v_cndmask_b32_e64 v33, 0, 0x100, vcc_lo
	v_ldexp_f64 v[38:39], v[38:39], v33
	v_cndmask_b32_e64 v33, 0, 0xffffff80, vcc_lo
	s_delay_alu instid0(VALU_DEP_2) | instskip(SKIP_1) | instid1(TRANS32_DEP_1)
	v_rsq_f64_e32 v[40:41], v[38:39]
	v_cmp_class_f64_e64 vcc_lo, v[38:39], 0x260
	v_mul_f64_e32 v[42:43], v[38:39], v[40:41]
	v_mul_f64_e32 v[40:41], 0.5, v[40:41]
	s_delay_alu instid0(VALU_DEP_1) | instskip(NEXT) | instid1(VALU_DEP_1)
	v_fma_f64 v[44:45], -v[40:41], v[42:43], 0.5
	v_fmac_f64_e32 v[42:43], v[42:43], v[44:45]
	v_fmac_f64_e32 v[40:41], v[40:41], v[44:45]
	s_delay_alu instid0(VALU_DEP_2) | instskip(NEXT) | instid1(VALU_DEP_1)
	v_fma_f64 v[44:45], -v[42:43], v[42:43], v[38:39]
	v_fmac_f64_e32 v[42:43], v[44:45], v[40:41]
	s_delay_alu instid0(VALU_DEP_1) | instskip(NEXT) | instid1(VALU_DEP_1)
	v_fma_f64 v[44:45], -v[42:43], v[42:43], v[38:39]
	v_fmac_f64_e32 v[42:43], v[44:45], v[40:41]
	s_delay_alu instid0(VALU_DEP_1) | instskip(NEXT) | instid1(VALU_DEP_1)
	v_ldexp_f64 v[40:41], v[42:43], v33
	v_dual_cndmask_b32 v39, v41, v39 :: v_dual_cndmask_b32 v38, v40, v38
	s_delay_alu instid0(VALU_DEP_1) | instskip(NEXT) | instid1(VALU_DEP_1)
	v_div_scale_f64 v[40:41], null, v[38:39], v[38:39], 1.0
	v_rcp_f64_e32 v[42:43], v[40:41]
	v_nop
	s_delay_alu instid0(TRANS32_DEP_1) | instskip(NEXT) | instid1(VALU_DEP_1)
	v_fma_f64 v[44:45], -v[40:41], v[42:43], 1.0
	v_fmac_f64_e32 v[42:43], v[42:43], v[44:45]
	s_delay_alu instid0(VALU_DEP_1) | instskip(NEXT) | instid1(VALU_DEP_1)
	v_fma_f64 v[44:45], -v[40:41], v[42:43], 1.0
	v_fmac_f64_e32 v[42:43], v[42:43], v[44:45]
	v_div_scale_f64 v[44:45], vcc_lo, 1.0, v[38:39], 1.0
	s_delay_alu instid0(VALU_DEP_1) | instskip(NEXT) | instid1(VALU_DEP_1)
	v_mul_f64_e32 v[48:49], v[44:45], v[42:43]
	v_fma_f64 v[40:41], -v[40:41], v[48:49], v[44:45]
	s_delay_alu instid0(VALU_DEP_1) | instskip(NEXT) | instid1(VALU_DEP_1)
	v_div_fmas_f64 v[40:41], v[40:41], v[42:43], v[48:49]
	v_div_fixup_f64 v[42:43], v[40:41], v[38:39], 1.0
	s_delay_alu instid0(VALU_DEP_1)
	v_mul_f64_e32 v[38:39], v[30:31], v[42:43]
.LBB22_135:                             ;   in Loop: Header=BB22_68 Depth=2
	s_or_b32 exec_lo, exec_lo, s33
                                        ; implicit-def: $vgpr40_vgpr41
                                        ; implicit-def: $vgpr30_vgpr31
.LBB22_136:                             ;   in Loop: Header=BB22_68 Depth=2
	s_and_not1_saveexec_b32 s3, s3
	s_cbranch_execz .LBB22_138
; %bb.137:                              ;   in Loop: Header=BB22_68 Depth=2
	v_div_scale_f64 v[38:39], null, v[40:41], v[40:41], -v[30:31]
	v_div_scale_f64 v[48:49], vcc_lo, -v[30:31], v[40:41], -v[30:31]
	s_delay_alu instid0(VALU_DEP_2) | instskip(SKIP_1) | instid1(TRANS32_DEP_1)
	v_rcp_f64_e32 v[42:43], v[38:39]
	v_nop
	v_fma_f64 v[44:45], -v[38:39], v[42:43], 1.0
	s_delay_alu instid0(VALU_DEP_1) | instskip(NEXT) | instid1(VALU_DEP_1)
	v_fmac_f64_e32 v[42:43], v[42:43], v[44:45]
	v_fma_f64 v[44:45], -v[38:39], v[42:43], 1.0
	s_delay_alu instid0(VALU_DEP_1) | instskip(NEXT) | instid1(VALU_DEP_1)
	v_fmac_f64_e32 v[42:43], v[42:43], v[44:45]
	v_mul_f64_e32 v[44:45], v[48:49], v[42:43]
	s_delay_alu instid0(VALU_DEP_1) | instskip(NEXT) | instid1(VALU_DEP_1)
	v_fma_f64 v[38:39], -v[38:39], v[44:45], v[48:49]
	v_div_fmas_f64 v[38:39], v[38:39], v[42:43], v[44:45]
	s_delay_alu instid0(VALU_DEP_1) | instskip(NEXT) | instid1(VALU_DEP_1)
	v_div_fixup_f64 v[30:31], v[38:39], v[40:41], -v[30:31]
	v_fma_f64 v[38:39], v[30:31], v[30:31], 1.0
	s_delay_alu instid0(VALU_DEP_1) | instskip(SKIP_1) | instid1(VALU_DEP_1)
	v_cmp_gt_f64_e32 vcc_lo, 0x10000000, v[38:39]
	v_cndmask_b32_e64 v33, 0, 0x100, vcc_lo
	v_ldexp_f64 v[38:39], v[38:39], v33
	v_cndmask_b32_e64 v33, 0, 0xffffff80, vcc_lo
	s_delay_alu instid0(VALU_DEP_2) | instskip(SKIP_1) | instid1(TRANS32_DEP_1)
	v_rsq_f64_e32 v[40:41], v[38:39]
	v_cmp_class_f64_e64 vcc_lo, v[38:39], 0x260
	v_mul_f64_e32 v[42:43], v[38:39], v[40:41]
	v_mul_f64_e32 v[40:41], 0.5, v[40:41]
	s_delay_alu instid0(VALU_DEP_1) | instskip(NEXT) | instid1(VALU_DEP_1)
	v_fma_f64 v[44:45], -v[40:41], v[42:43], 0.5
	v_fmac_f64_e32 v[42:43], v[42:43], v[44:45]
	v_fmac_f64_e32 v[40:41], v[40:41], v[44:45]
	s_delay_alu instid0(VALU_DEP_2) | instskip(NEXT) | instid1(VALU_DEP_1)
	v_fma_f64 v[44:45], -v[42:43], v[42:43], v[38:39]
	v_fmac_f64_e32 v[42:43], v[44:45], v[40:41]
	s_delay_alu instid0(VALU_DEP_1) | instskip(NEXT) | instid1(VALU_DEP_1)
	v_fma_f64 v[44:45], -v[42:43], v[42:43], v[38:39]
	v_fmac_f64_e32 v[42:43], v[44:45], v[40:41]
	s_delay_alu instid0(VALU_DEP_1) | instskip(NEXT) | instid1(VALU_DEP_1)
	v_ldexp_f64 v[40:41], v[42:43], v33
	v_dual_cndmask_b32 v39, v41, v39 :: v_dual_cndmask_b32 v38, v40, v38
	s_delay_alu instid0(VALU_DEP_1) | instskip(NEXT) | instid1(VALU_DEP_1)
	v_div_scale_f64 v[40:41], null, v[38:39], v[38:39], 1.0
	v_rcp_f64_e32 v[42:43], v[40:41]
	v_nop
	s_delay_alu instid0(TRANS32_DEP_1) | instskip(NEXT) | instid1(VALU_DEP_1)
	v_fma_f64 v[44:45], -v[40:41], v[42:43], 1.0
	v_fmac_f64_e32 v[42:43], v[42:43], v[44:45]
	s_delay_alu instid0(VALU_DEP_1) | instskip(NEXT) | instid1(VALU_DEP_1)
	v_fma_f64 v[44:45], -v[40:41], v[42:43], 1.0
	v_fmac_f64_e32 v[42:43], v[42:43], v[44:45]
	v_div_scale_f64 v[44:45], vcc_lo, 1.0, v[38:39], 1.0
	s_delay_alu instid0(VALU_DEP_1) | instskip(NEXT) | instid1(VALU_DEP_1)
	v_mul_f64_e32 v[48:49], v[44:45], v[42:43]
	v_fma_f64 v[40:41], -v[40:41], v[48:49], v[44:45]
	s_delay_alu instid0(VALU_DEP_1) | instskip(NEXT) | instid1(VALU_DEP_1)
	v_div_fmas_f64 v[40:41], v[40:41], v[42:43], v[48:49]
	v_div_fixup_f64 v[38:39], v[40:41], v[38:39], 1.0
	s_delay_alu instid0(VALU_DEP_1)
	v_mul_f64_e32 v[42:43], v[30:31], v[38:39]
.LBB22_138:                             ;   in Loop: Header=BB22_68 Depth=2
	s_or_b32 exec_lo, exec_lo, s3
	v_cmp_eq_u32_e32 vcc_lo, v29, v46
	v_ashrrev_i32_e32 v33, 31, v32
	s_delay_alu instid0(VALU_DEP_3) | instskip(SKIP_2) | instid1(VALU_DEP_4)
	v_xor_b32_e32 v40, 0x80000000, v39
	v_lshl_add_u64 v[36:37], v[36:37], 3, s[46:47]
	v_dual_cndmask_b32 v39, v39, v43 :: v_dual_add_nc_u32 v28, -2, v28
	v_lshl_add_u64 v[30:31], v[32:33], 3, s[50:51]
	s_delay_alu instid0(VALU_DEP_4) | instskip(SKIP_1) | instid1(VALU_DEP_3)
	v_dual_cndmask_b32 v33, v43, v40 :: v_dual_cndmask_b32 v32, v42, v38
	v_cndmask_b32_e32 v38, v38, v42, vcc_lo
	v_lshl_add_u64 v[40:41], s[6:7], 3, v[30:31]
	s_clause 0x1
	global_store_b64 v[30:31], v[32:33], off
	global_store_b64 v[40:41], v[38:39], off offset:-8
	global_store_b128 v[34:35], v[2:5], off offset:-8
	global_store_b64 v[36:37], v[12:13], off offset:-8
	ds_store_b32 v60, v28 offset:16
	s_wait_xcnt 0x0
	s_or_b32 exec_lo, exec_lo, s31
                                        ; implicit-def: $vgpr2
.LBB22_139:                             ;   in Loop: Header=BB22_68 Depth=2
	s_and_not1_saveexec_b32 s3, s10
.LBB22_140:                             ;   in Loop: Header=BB22_68 Depth=2
	ds_store_b32 v60, v2 offset:16
.LBB22_141:                             ;   in Loop: Header=BB22_68 Depth=2
	s_or_b32 exec_lo, exec_lo, s3
.LBB22_142:                             ;   in Loop: Header=BB22_68 Depth=2
	s_delay_alu instid0(SALU_CYCLE_1)
	s_or_b32 exec_lo, exec_lo, s5
	s_wait_storecnt_dscnt 0x0
	s_barrier_signal -1
	s_barrier_wait -1
	ds_load_b64 v[2:3], v60 offset:16
	s_wait_dscnt 0x0
	v_readfirstlane_b32 s80, v3
	s_delay_alu instid0(VALU_DEP_1)
	v_cmp_eq_u32_e32 vcc_lo, s80, v2
	v_mov_b32_e32 v28, s80
	s_cbranch_vccnz .LBB22_67
; %bb.143:                              ;   in Loop: Header=BB22_68 Depth=2
	s_and_saveexec_b32 s3, s2
	s_cbranch_execz .LBB22_66
; %bb.144:                              ;   in Loop: Header=BB22_68 Depth=2
	ds_load_b32 v2, v60 offset:28
	s_mul_i32 s82, s80, s11
	s_ashr_i32 s81, s80, 31
	s_ashr_i32 s83, s82, 31
	s_lshl_b64 s[78:79], s[80:81], 3
	s_lshl_b64 s[84:85], s[82:83], 4
	v_mov_b32_e32 v30, v6
	v_add_nc_u64_e32 v[28:29], s[84:85], v[10:11]
	s_add_nc_u64 s[82:83], s[48:49], s[84:85]
	s_add_nc_u64 s[78:79], s[50:51], s[78:79]
	s_mov_b32 s10, 0
	s_wait_dscnt 0x0
	v_readfirstlane_b32 s5, v2
	s_sub_co_i32 s80, s5, s80
	s_delay_alu instid0(SALU_CYCLE_1) | instskip(SKIP_2) | instid1(SALU_CYCLE_1)
	s_cmp_gt_i32 s80, 0
	s_cselect_b32 s5, -1, 0
	s_ashr_i32 s81, s80, 31
	s_mul_u64 s[84:85], s[80:81], s[52:53]
	s_delay_alu instid0(SALU_CYCLE_1) | instskip(NEXT) | instid1(SALU_CYCLE_1)
	s_lshl_b64 s[84:85], s[84:85], 4
	s_add_nc_u64 s[84:85], s[82:83], s[84:85]
	s_branch .LBB22_146
.LBB22_145:                             ;   in Loop: Header=BB22_146 Depth=3
	v_ashrrev_i32_e32 v31, 31, v30
	v_add_nc_u64_e32 v[28:29], s[70:71], v[28:29]
	s_delay_alu instid0(VALU_DEP_2)
	v_lshl_add_u64 v[32:33], v[30:31], 4, s[84:85]
	s_wait_xcnt 0x0
	v_add_nc_u32_e32 v30, s36, v30
	s_wait_loadcnt 0x0
	global_store_b128 v[32:33], v[2:5], off
	v_cmp_le_i32_e32 vcc_lo, s6, v30
	s_or_b32 s10, vcc_lo, s10
	s_wait_xcnt 0x0
	s_and_not1_b32 exec_lo, exec_lo, s10
	s_cbranch_execz .LBB22_66
.LBB22_146:                             ;   Parent Loop BB22_7 Depth=1
                                        ;     Parent Loop BB22_68 Depth=2
                                        ; =>    This Loop Header: Depth=3
                                        ;         Child Loop BB22_147 Depth 4
	global_load_b128 v[2:5], v30, s[82:83] scale_offset
	v_mov_b64_e32 v[32:33], v[28:29]
	s_and_not1_b32 vcc_lo, exec_lo, s5
	s_mov_b64 s[86:87], s[78:79]
	s_mov_b32 s31, s80
	s_cbranch_vccnz .LBB22_145
.LBB22_147:                             ;   Parent Loop BB22_7 Depth=1
                                        ;     Parent Loop BB22_68 Depth=2
                                        ;       Parent Loop BB22_146 Depth=3
                                        ; =>      This Inner Loop Header: Depth=4
	s_delay_alu instid0(VALU_DEP_1)
	v_add_nc_u64_e32 v[42:43], s[68:69], v[32:33]
	s_add_nc_u64 s[88:89], s[86:87], s[64:65]
	s_add_co_i32 s31, s31, -1
	global_load_b128 v[34:37], v[42:43], off offset:-8
	s_clause 0x1
	global_load_b64 v[44:45], v60, s[88:89]
	global_load_b64 v[46:47], v60, s[86:87]
	s_cmp_eq_u32 s31, 0
	s_wait_xcnt 0x0
	s_add_nc_u64 s[86:87], s[86:87], 8
	s_wait_loadcnt 0x1
	v_mul_f64_e32 v[38:39], v[44:45], v[34:35]
	v_mul_f64_e32 v[40:41], v[44:45], v[36:37]
	;; [unrolled: 1-line block ×4, first 2 shown]
	s_wait_loadcnt 0x0
	s_delay_alu instid0(VALU_DEP_4) | instskip(NEXT) | instid1(VALU_DEP_4)
	v_fmac_f64_e32 v[38:39], v[2:3], v[46:47]
	v_fmac_f64_e32 v[40:41], v[4:5], v[46:47]
	s_delay_alu instid0(VALU_DEP_4) | instskip(NEXT) | instid1(VALU_DEP_4)
	v_fma_f64 v[2:3], v[46:47], v[34:35], -v[48:49]
	v_fma_f64 v[4:5], v[46:47], v[36:37], -v[44:45]
	global_store_b128 v[32:33], v[38:41], off offset:-8
	s_wait_xcnt 0x0
	v_mov_b64_e32 v[32:33], v[42:43]
	s_cbranch_scc0 .LBB22_147
	s_branch .LBB22_145
.LBB22_148:                             ;   in Loop: Header=BB22_68 Depth=2
	s_or_b32 exec_lo, exec_lo, s31
                                        ; implicit-def: $vgpr2
	s_and_not1_saveexec_b32 s3, s10
	s_cbranch_execnz .LBB22_140
	s_branch .LBB22_141
.LBB22_149:                             ;   in Loop: Header=BB22_151 Depth=2
	s_or_b32 exec_lo, exec_lo, s5
	s_wait_storecnt 0x0
	s_barrier_signal -1
	s_barrier_wait -1
	ds_load_b32 v36, v60 offset:16
.LBB22_150:                             ;   in Loop: Header=BB22_151 Depth=2
	ds_load_b64 v[42:43], v60 offset:32
	s_wait_dscnt 0x0
	v_cmp_le_i32_e32 vcc_lo, v36, v42
	v_cmp_gt_i32_e64 s5, s30, v43
	s_and_b32 s5, vcc_lo, s5
	s_delay_alu instid0(SALU_CYCLE_1)
	s_and_not1_b32 vcc_lo, exec_lo, s5
	s_cbranch_vccnz .LBB22_50
.LBB22_151:                             ;   Parent Loop BB22_7 Depth=1
                                        ; =>  This Loop Header: Depth=2
                                        ;       Child Loop BB22_157 Depth 3
                                        ;       Child Loop BB22_177 Depth 3
                                        ;       Child Loop BB22_228 Depth 3
                                        ;         Child Loop BB22_229 Depth 4
	s_and_saveexec_b32 s10, s4
	s_cbranch_execz .LBB22_224
; %bb.152:                              ;   in Loop: Header=BB22_151 Depth=2
	v_cmp_lt_i32_e32 vcc_lo, v36, v42
	s_mov_b32 s5, 0
	s_cbranch_vccnz .LBB22_154
; %bb.153:                              ;   in Loop: Header=BB22_151 Depth=2
	v_ashrrev_i32_e32 v37, 31, v36
	s_mov_b32 s31, -1
	s_delay_alu instid0(VALU_DEP_1)
	v_mov_b64_e32 v[40:41], v[36:37]
	v_mov_b32_e32 v2, v36
	s_cbranch_execz .LBB22_155
	s_branch .LBB22_160
.LBB22_154:                             ;   in Loop: Header=BB22_151 Depth=2
	s_mov_b32 s31, 0
                                        ; implicit-def: $vgpr40_vgpr41
	v_mov_b32_e32 v2, v36
.LBB22_155:                             ;   in Loop: Header=BB22_151 Depth=2
	v_dual_mov_b32 v34, v36 :: v_dual_ashrrev_i32 v37, 31, v36
	s_delay_alu instid0(VALU_DEP_1) | instskip(NEXT) | instid1(VALU_DEP_1)
	v_lshlrev_b64_e32 v[2:3], 3, v[36:37]
	v_add_nc_u64_e32 v[4:5], s[46:47], v[2:3]
	v_add_nc_u64_e32 v[2:3], s[54:55], v[2:3]
	s_branch .LBB22_157
.LBB22_156:                             ;   in Loop: Header=BB22_157 Depth=3
	v_add_nc_u32_e32 v34, 1, v29
	v_add_nc_u64_e32 v[4:5], 8, v[32:33]
	v_add_nc_u64_e32 v[2:3], 8, v[2:3]
	s_mov_b32 s5, 0
	s_delay_alu instid0(VALU_DEP_3)
	v_cmp_ge_i32_e64 s31, v34, v42
	s_and_not1_b32 vcc_lo, exec_lo, s31
	s_cbranch_vccz .LBB22_159
.LBB22_157:                             ;   Parent Loop BB22_7 Depth=1
                                        ;     Parent Loop BB22_151 Depth=2
                                        ; =>    This Inner Loop Header: Depth=3
	global_load_b128 v[38:41], v[2:3], off
	v_mov_b64_e32 v[32:33], v[4:5]
	global_load_b64 v[4:5], v[4:5], off
	v_mov_b32_e32 v29, v34
	s_wait_loadcnt 0x1
	v_mul_f64_e32 v[38:39], v[38:39], v[40:41]
	s_wait_loadcnt 0x0
	v_mul_f64_e32 v[4:5], v[4:5], v[4:5]
	s_delay_alu instid0(VALU_DEP_2) | instskip(NEXT) | instid1(VALU_DEP_1)
	v_mul_f64_e64 v[38:39], v[8:9], |v[38:39]|
	v_cmp_le_f64_e64 s5, |v[4:5]|, v[38:39]
	s_and_b32 vcc_lo, exec_lo, s5
	s_cbranch_vccz .LBB22_156
; %bb.158:                              ;   in Loop: Header=BB22_151 Depth=2
	s_mov_b32 s5, -1
                                        ; implicit-def: $vgpr34
                                        ; implicit-def: $vgpr4_vgpr5
                                        ; implicit-def: $vgpr2_vgpr3
.LBB22_159:                             ;   in Loop: Header=BB22_151 Depth=2
	v_mov_b64_e32 v[34:35], v[36:37]
	v_mov_b64_e32 v[40:41], v[36:37]
	v_mov_b32_e32 v2, v42
	s_xor_b32 s31, s5, -1
	s_mov_b32 s5, -1
.LBB22_160:                             ;   in Loop: Header=BB22_151 Depth=2
	s_and_b32 vcc_lo, exec_lo, s31
	s_cbranch_vccnz .LBB22_189
; %bb.161:                              ;   in Loop: Header=BB22_151 Depth=2
	s_and_not1_b32 vcc_lo, exec_lo, s5
	s_cbranch_vccnz .LBB22_163
.LBB22_162:                             ;   in Loop: Header=BB22_151 Depth=2
	v_mov_b64_e32 v[40:41], v[34:35]
	v_mov_b32_e32 v2, v29
	ds_store_2addr_b32 v60, v29, v36 offset0:5 offset1:7
	global_store_b64 v[32:33], v[12:13], off
.LBB22_163:                             ;   in Loop: Header=BB22_151 Depth=2
	v_lshl_add_u64 v[38:39], v[40:41], 3, s[18:19]
	v_add_nc_u32_e32 v3, 1, v36
	s_mov_b32 s5, exec_lo
	global_load_b64 v[48:49], v[38:39], off
	s_wait_loadcnt 0x0
	ds_store_b64 v60, v[48:49]
	s_wait_xcnt 0x0
	v_cmpx_ne_u32_e64 v2, v36
	s_xor_b32 s31, exec_lo, s5
	s_cbranch_execz .LBB22_221
; %bb.164:                              ;   in Loop: Header=BB22_151 Depth=2
	s_mov_b32 s5, exec_lo
	v_cmpx_ne_u32_e64 v2, v3
	s_xor_b32 s5, exec_lo, s5
	s_cbranch_execz .LBB22_193
; %bb.165:                              ;   in Loop: Header=BB22_151 Depth=2
	v_lshl_add_u64 v[4:5], v[40:41], 3, s[46:47]
	s_mov_b32 s33, exec_lo
	global_load_b64 v[40:41], v[38:39], off offset:8
	global_load_b64 v[44:45], v[4:5], off
	global_load_b64 v[46:47], v2, s[18:19] scale_offset
	s_wait_loadcnt 0x2
	v_add_f64_e64 v[40:41], v[40:41], -v[48:49]
	s_wait_loadcnt 0x1
	v_add_f64_e32 v[50:51], v[44:45], v[44:45]
	s_delay_alu instid0(VALU_DEP_1) | instskip(SKIP_1) | instid1(VALU_DEP_2)
	v_div_scale_f64 v[52:53], null, v[50:51], v[50:51], v[40:41]
	v_div_scale_f64 v[58:59], vcc_lo, v[40:41], v[50:51], v[40:41]
	v_rcp_f64_e32 v[54:55], v[52:53]
	v_nop
	s_delay_alu instid0(TRANS32_DEP_1) | instskip(NEXT) | instid1(VALU_DEP_1)
	v_fma_f64 v[56:57], -v[52:53], v[54:55], 1.0
	v_fmac_f64_e32 v[54:55], v[54:55], v[56:57]
	s_delay_alu instid0(VALU_DEP_1) | instskip(NEXT) | instid1(VALU_DEP_1)
	v_fma_f64 v[56:57], -v[52:53], v[54:55], 1.0
	v_fmac_f64_e32 v[54:55], v[54:55], v[56:57]
	s_delay_alu instid0(VALU_DEP_1) | instskip(NEXT) | instid1(VALU_DEP_1)
	v_mul_f64_e32 v[56:57], v[58:59], v[54:55]
	v_fma_f64 v[52:53], -v[52:53], v[56:57], v[58:59]
	s_delay_alu instid0(VALU_DEP_1) | instskip(NEXT) | instid1(VALU_DEP_1)
	v_div_fmas_f64 v[52:53], v[52:53], v[54:55], v[56:57]
	v_div_fixup_f64 v[40:41], v[52:53], v[50:51], v[40:41]
	s_delay_alu instid0(VALU_DEP_1) | instskip(NEXT) | instid1(VALU_DEP_1)
	v_fma_f64 v[50:51], v[40:41], v[40:41], 1.0
	v_cmp_gt_f64_e32 vcc_lo, 0x10000000, v[50:51]
	v_cndmask_b32_e64 v3, 0, 0x100, vcc_lo
	s_delay_alu instid0(VALU_DEP_1) | instskip(SKIP_1) | instid1(VALU_DEP_2)
	v_ldexp_f64 v[50:51], v[50:51], v3
	v_cndmask_b32_e64 v3, 0, 0xffffff80, vcc_lo
	v_rsq_f64_e32 v[52:53], v[50:51]
	v_cmp_class_f64_e64 vcc_lo, v[50:51], 0x260
	s_delay_alu instid0(TRANS32_DEP_1) | instskip(SKIP_1) | instid1(VALU_DEP_1)
	v_mul_f64_e32 v[54:55], v[50:51], v[52:53]
	v_mul_f64_e32 v[52:53], 0.5, v[52:53]
	v_fma_f64 v[56:57], -v[52:53], v[54:55], 0.5
	s_delay_alu instid0(VALU_DEP_1) | instskip(SKIP_1) | instid1(VALU_DEP_2)
	v_fmac_f64_e32 v[54:55], v[54:55], v[56:57]
	v_fmac_f64_e32 v[52:53], v[52:53], v[56:57]
	v_fma_f64 v[56:57], -v[54:55], v[54:55], v[50:51]
	s_delay_alu instid0(VALU_DEP_1) | instskip(NEXT) | instid1(VALU_DEP_1)
	v_fmac_f64_e32 v[54:55], v[56:57], v[52:53]
	v_fma_f64 v[56:57], -v[54:55], v[54:55], v[50:51]
	s_delay_alu instid0(VALU_DEP_1) | instskip(NEXT) | instid1(VALU_DEP_1)
	v_fmac_f64_e32 v[54:55], v[56:57], v[52:53]
	v_ldexp_f64 v[52:53], v[54:55], v3
	s_delay_alu instid0(VALU_DEP_1) | instskip(SKIP_1) | instid1(VALU_DEP_2)
	v_dual_cndmask_b32 v3, v53, v51 :: v_dual_cndmask_b32 v50, v52, v50
	v_cmp_nle_f64_e32 vcc_lo, 0, v[40:41]
	v_and_b32_e32 v37, 0x7fffffff, v3
	v_or_b32_e32 v3, 0x80000000, v3
	s_delay_alu instid0(VALU_DEP_1) | instskip(SKIP_4) | instid1(VALU_DEP_1)
	v_cndmask_b32_e32 v51, v37, v3, vcc_lo
	v_add_nc_u32_e32 v3, 1, v43
	ds_store_b32 v60, v3 offset:36
	ds_store_b64 v60, v[12:13]
	v_add_f64_e32 v[40:41], v[40:41], v[50:51]
	v_div_scale_f64 v[50:51], null, v[40:41], v[40:41], v[44:45]
	s_delay_alu instid0(VALU_DEP_1) | instskip(SKIP_1) | instid1(TRANS32_DEP_1)
	v_rcp_f64_e32 v[52:53], v[50:51]
	v_nop
	v_fma_f64 v[54:55], -v[50:51], v[52:53], 1.0
	s_delay_alu instid0(VALU_DEP_1) | instskip(NEXT) | instid1(VALU_DEP_1)
	v_fmac_f64_e32 v[52:53], v[52:53], v[54:55]
	v_fma_f64 v[54:55], -v[50:51], v[52:53], 1.0
	s_delay_alu instid0(VALU_DEP_1) | instskip(SKIP_1) | instid1(VALU_DEP_1)
	v_fmac_f64_e32 v[52:53], v[52:53], v[54:55]
	v_div_scale_f64 v[54:55], vcc_lo, v[44:45], v[40:41], v[44:45]
	v_mul_f64_e32 v[56:57], v[54:55], v[52:53]
	s_delay_alu instid0(VALU_DEP_1) | instskip(NEXT) | instid1(VALU_DEP_1)
	v_fma_f64 v[50:51], -v[50:51], v[56:57], v[54:55]
	v_div_fmas_f64 v[50:51], v[50:51], v[52:53], v[56:57]
	s_wait_loadcnt 0x0
	v_add_f64_e64 v[52:53], v[46:47], -v[48:49]
	s_delay_alu instid0(VALU_DEP_2) | instskip(SKIP_1) | instid1(VALU_DEP_2)
	v_div_fixup_f64 v[40:41], v[50:51], v[40:41], v[44:45]
	v_mov_b64_e32 v[44:45], 0
	v_add_f64_e32 v[40:41], v[52:53], v[40:41]
	s_wait_xcnt 0x0
	v_cmpx_gt_i32_e64 v2, v36
	s_cbranch_execz .LBB22_192
; %bb.166:                              ;   in Loop: Header=BB22_151 Depth=2
	v_ashrrev_i32_e32 v3, 31, v2
	v_mov_b64_e32 v[52:53], 0
	s_mov_b32 s37, exec_lo
	s_delay_alu instid0(VALU_DEP_2)
	v_lshl_add_u64 v[42:43], v[2:3], 3, s[46:47]
	global_load_b64 v[48:49], v[42:43], off offset:-8
	s_wait_xcnt 0x0
	v_mov_b64_e32 v[42:43], 1.0
	s_wait_loadcnt 0x0
	v_cmpx_neq_f64_e32 0, v[48:49]
	s_cbranch_execz .LBB22_174
; %bb.167:                              ;   in Loop: Header=BB22_151 Depth=2
	v_mov_b64_e32 v[42:43], 0
	v_mov_b64_e32 v[52:53], 1.0
	s_mov_b32 s39, exec_lo
	v_cmpx_neq_f64_e32 0, v[40:41]
	s_cbranch_execz .LBB22_173
; %bb.168:                              ;   in Loop: Header=BB22_151 Depth=2
	v_cmp_ngt_f64_e64 s76, |v[48:49]|, |v[40:41]|
                                        ; implicit-def: $vgpr52_vgpr53
                                        ; implicit-def: $vgpr42_vgpr43
	s_and_saveexec_b32 s78, s76
	s_delay_alu instid0(SALU_CYCLE_1)
	s_xor_b32 s76, exec_lo, s78
	s_cbranch_execz .LBB22_170
; %bb.169:                              ;   in Loop: Header=BB22_151 Depth=2
	v_div_scale_f64 v[42:43], null, v[40:41], v[40:41], -v[48:49]
	v_div_scale_f64 v[52:53], vcc_lo, -v[48:49], v[40:41], -v[48:49]
	s_delay_alu instid0(VALU_DEP_2) | instskip(SKIP_1) | instid1(TRANS32_DEP_1)
	v_rcp_f64_e32 v[44:45], v[42:43]
	v_nop
	v_fma_f64 v[50:51], -v[42:43], v[44:45], 1.0
	s_delay_alu instid0(VALU_DEP_1) | instskip(NEXT) | instid1(VALU_DEP_1)
	v_fmac_f64_e32 v[44:45], v[44:45], v[50:51]
	v_fma_f64 v[50:51], -v[42:43], v[44:45], 1.0
	s_delay_alu instid0(VALU_DEP_1) | instskip(NEXT) | instid1(VALU_DEP_1)
	v_fmac_f64_e32 v[44:45], v[44:45], v[50:51]
	v_mul_f64_e32 v[50:51], v[52:53], v[44:45]
	s_delay_alu instid0(VALU_DEP_1) | instskip(NEXT) | instid1(VALU_DEP_1)
	v_fma_f64 v[42:43], -v[42:43], v[50:51], v[52:53]
	v_div_fmas_f64 v[42:43], v[42:43], v[44:45], v[50:51]
	s_delay_alu instid0(VALU_DEP_1) | instskip(NEXT) | instid1(VALU_DEP_1)
	v_div_fixup_f64 v[40:41], v[42:43], v[40:41], -v[48:49]
	v_fma_f64 v[42:43], v[40:41], v[40:41], 1.0
	s_delay_alu instid0(VALU_DEP_1) | instskip(SKIP_1) | instid1(VALU_DEP_1)
	v_cmp_gt_f64_e32 vcc_lo, 0x10000000, v[42:43]
	v_cndmask_b32_e64 v37, 0, 0x100, vcc_lo
	v_ldexp_f64 v[42:43], v[42:43], v37
	v_cndmask_b32_e64 v37, 0, 0xffffff80, vcc_lo
	s_delay_alu instid0(VALU_DEP_2) | instskip(SKIP_1) | instid1(TRANS32_DEP_1)
	v_rsq_f64_e32 v[44:45], v[42:43]
	v_cmp_class_f64_e64 vcc_lo, v[42:43], 0x260
	v_mul_f64_e32 v[50:51], v[42:43], v[44:45]
	v_mul_f64_e32 v[44:45], 0.5, v[44:45]
	s_delay_alu instid0(VALU_DEP_1) | instskip(NEXT) | instid1(VALU_DEP_1)
	v_fma_f64 v[52:53], -v[44:45], v[50:51], 0.5
	v_fmac_f64_e32 v[50:51], v[50:51], v[52:53]
	v_fmac_f64_e32 v[44:45], v[44:45], v[52:53]
	s_delay_alu instid0(VALU_DEP_2) | instskip(NEXT) | instid1(VALU_DEP_1)
	v_fma_f64 v[52:53], -v[50:51], v[50:51], v[42:43]
	v_fmac_f64_e32 v[50:51], v[52:53], v[44:45]
	s_delay_alu instid0(VALU_DEP_1) | instskip(NEXT) | instid1(VALU_DEP_1)
	v_fma_f64 v[52:53], -v[50:51], v[50:51], v[42:43]
	v_fmac_f64_e32 v[50:51], v[52:53], v[44:45]
	s_delay_alu instid0(VALU_DEP_1) | instskip(NEXT) | instid1(VALU_DEP_1)
	v_ldexp_f64 v[44:45], v[50:51], v37
	v_dual_cndmask_b32 v43, v45, v43 :: v_dual_cndmask_b32 v42, v44, v42
	s_delay_alu instid0(VALU_DEP_1) | instskip(NEXT) | instid1(VALU_DEP_1)
	v_div_scale_f64 v[44:45], null, v[42:43], v[42:43], 1.0
	v_rcp_f64_e32 v[50:51], v[44:45]
	v_nop
	s_delay_alu instid0(TRANS32_DEP_1) | instskip(NEXT) | instid1(VALU_DEP_1)
	v_fma_f64 v[52:53], -v[44:45], v[50:51], 1.0
	v_fmac_f64_e32 v[50:51], v[50:51], v[52:53]
	s_delay_alu instid0(VALU_DEP_1) | instskip(NEXT) | instid1(VALU_DEP_1)
	v_fma_f64 v[52:53], -v[44:45], v[50:51], 1.0
	v_fmac_f64_e32 v[50:51], v[50:51], v[52:53]
	v_div_scale_f64 v[52:53], vcc_lo, 1.0, v[42:43], 1.0
	s_delay_alu instid0(VALU_DEP_1) | instskip(NEXT) | instid1(VALU_DEP_1)
	v_mul_f64_e32 v[54:55], v[52:53], v[50:51]
	v_fma_f64 v[44:45], -v[44:45], v[54:55], v[52:53]
	s_delay_alu instid0(VALU_DEP_1) | instskip(NEXT) | instid1(VALU_DEP_1)
	v_div_fmas_f64 v[44:45], v[44:45], v[50:51], v[54:55]
	v_div_fixup_f64 v[42:43], v[44:45], v[42:43], 1.0
	s_delay_alu instid0(VALU_DEP_1)
	v_mul_f64_e32 v[52:53], v[40:41], v[42:43]
                                        ; implicit-def: $vgpr40_vgpr41
.LBB22_170:                             ;   in Loop: Header=BB22_151 Depth=2
	s_and_not1_saveexec_b32 s76, s76
	s_cbranch_execz .LBB22_172
; %bb.171:                              ;   in Loop: Header=BB22_151 Depth=2
	v_div_scale_f64 v[42:43], null, v[48:49], v[48:49], -v[40:41]
	v_div_scale_f64 v[52:53], vcc_lo, -v[40:41], v[48:49], -v[40:41]
	s_delay_alu instid0(VALU_DEP_2) | instskip(SKIP_1) | instid1(TRANS32_DEP_1)
	v_rcp_f64_e32 v[44:45], v[42:43]
	v_nop
	v_fma_f64 v[50:51], -v[42:43], v[44:45], 1.0
	s_delay_alu instid0(VALU_DEP_1) | instskip(NEXT) | instid1(VALU_DEP_1)
	v_fmac_f64_e32 v[44:45], v[44:45], v[50:51]
	v_fma_f64 v[50:51], -v[42:43], v[44:45], 1.0
	s_delay_alu instid0(VALU_DEP_1) | instskip(NEXT) | instid1(VALU_DEP_1)
	v_fmac_f64_e32 v[44:45], v[44:45], v[50:51]
	v_mul_f64_e32 v[50:51], v[52:53], v[44:45]
	s_delay_alu instid0(VALU_DEP_1) | instskip(NEXT) | instid1(VALU_DEP_1)
	v_fma_f64 v[42:43], -v[42:43], v[50:51], v[52:53]
	v_div_fmas_f64 v[42:43], v[42:43], v[44:45], v[50:51]
	s_delay_alu instid0(VALU_DEP_1) | instskip(NEXT) | instid1(VALU_DEP_1)
	v_div_fixup_f64 v[40:41], v[42:43], v[48:49], -v[40:41]
	v_fma_f64 v[42:43], v[40:41], v[40:41], 1.0
	s_delay_alu instid0(VALU_DEP_1) | instskip(SKIP_1) | instid1(VALU_DEP_1)
	v_cmp_gt_f64_e32 vcc_lo, 0x10000000, v[42:43]
	v_cndmask_b32_e64 v37, 0, 0x100, vcc_lo
	v_ldexp_f64 v[42:43], v[42:43], v37
	v_cndmask_b32_e64 v37, 0, 0xffffff80, vcc_lo
	s_delay_alu instid0(VALU_DEP_2) | instskip(SKIP_1) | instid1(TRANS32_DEP_1)
	v_rsq_f64_e32 v[44:45], v[42:43]
	v_cmp_class_f64_e64 vcc_lo, v[42:43], 0x260
	v_mul_f64_e32 v[50:51], v[42:43], v[44:45]
	v_mul_f64_e32 v[44:45], 0.5, v[44:45]
	s_delay_alu instid0(VALU_DEP_1) | instskip(NEXT) | instid1(VALU_DEP_1)
	v_fma_f64 v[52:53], -v[44:45], v[50:51], 0.5
	v_fmac_f64_e32 v[50:51], v[50:51], v[52:53]
	v_fmac_f64_e32 v[44:45], v[44:45], v[52:53]
	s_delay_alu instid0(VALU_DEP_2) | instskip(NEXT) | instid1(VALU_DEP_1)
	v_fma_f64 v[52:53], -v[50:51], v[50:51], v[42:43]
	v_fmac_f64_e32 v[50:51], v[52:53], v[44:45]
	s_delay_alu instid0(VALU_DEP_1) | instskip(NEXT) | instid1(VALU_DEP_1)
	v_fma_f64 v[52:53], -v[50:51], v[50:51], v[42:43]
	v_fmac_f64_e32 v[50:51], v[52:53], v[44:45]
	s_delay_alu instid0(VALU_DEP_1) | instskip(NEXT) | instid1(VALU_DEP_1)
	v_ldexp_f64 v[44:45], v[50:51], v37
	v_dual_cndmask_b32 v43, v45, v43 :: v_dual_cndmask_b32 v42, v44, v42
	s_delay_alu instid0(VALU_DEP_1) | instskip(NEXT) | instid1(VALU_DEP_1)
	v_div_scale_f64 v[44:45], null, v[42:43], v[42:43], 1.0
	v_rcp_f64_e32 v[50:51], v[44:45]
	v_nop
	s_delay_alu instid0(TRANS32_DEP_1) | instskip(NEXT) | instid1(VALU_DEP_1)
	v_fma_f64 v[52:53], -v[44:45], v[50:51], 1.0
	v_fmac_f64_e32 v[50:51], v[50:51], v[52:53]
	s_delay_alu instid0(VALU_DEP_1) | instskip(NEXT) | instid1(VALU_DEP_1)
	v_fma_f64 v[52:53], -v[44:45], v[50:51], 1.0
	v_fmac_f64_e32 v[50:51], v[50:51], v[52:53]
	v_div_scale_f64 v[52:53], vcc_lo, 1.0, v[42:43], 1.0
	s_delay_alu instid0(VALU_DEP_1) | instskip(NEXT) | instid1(VALU_DEP_1)
	v_mul_f64_e32 v[54:55], v[52:53], v[50:51]
	v_fma_f64 v[44:45], -v[44:45], v[54:55], v[52:53]
	s_delay_alu instid0(VALU_DEP_1) | instskip(NEXT) | instid1(VALU_DEP_1)
	v_div_fmas_f64 v[44:45], v[44:45], v[50:51], v[54:55]
	v_div_fixup_f64 v[52:53], v[44:45], v[42:43], 1.0
	s_delay_alu instid0(VALU_DEP_1)
	v_mul_f64_e32 v[42:43], v[40:41], v[52:53]
.LBB22_172:                             ;   in Loop: Header=BB22_151 Depth=2
	s_or_b32 exec_lo, exec_lo, s76
.LBB22_173:                             ;   in Loop: Header=BB22_151 Depth=2
	s_delay_alu instid0(SALU_CYCLE_1)
	s_or_b32 exec_lo, exec_lo, s39
.LBB22_174:                             ;   in Loop: Header=BB22_151 Depth=2
	s_delay_alu instid0(SALU_CYCLE_1) | instskip(SKIP_1) | instid1(VALU_DEP_2)
	s_or_b32 exec_lo, exec_lo, s37
	v_lshl_add_u64 v[50:51], v[2:3], 3, s[18:19]
	v_add_f64_e32 v[44:45], v[42:43], v[42:43]
	s_mov_b32 s37, exec_lo
	global_load_b64 v[40:41], v[50:51], off offset:-8
	s_wait_loadcnt 0x0
	v_add_f64_e64 v[40:41], v[40:41], -v[46:47]
	s_delay_alu instid0(VALU_DEP_1) | instskip(NEXT) | instid1(VALU_DEP_1)
	v_mul_f64_e32 v[40:41], v[52:53], v[40:41]
	v_fma_f64 v[40:41], v[48:49], v[44:45], -v[40:41]
	s_delay_alu instid0(VALU_DEP_1) | instskip(SKIP_4) | instid1(VALU_DEP_2)
	v_mul_f64_e64 v[44:45], v[40:41], -v[52:53]
	v_fma_f64 v[54:55], v[40:41], -v[52:53], v[46:47]
	v_fma_f64 v[40:41], v[42:43], v[40:41], -v[48:49]
	v_lshl_add_u64 v[48:49], v[2:3], 3, s[50:51]
	v_add_nc_u32_e32 v46, -1, v2
	v_add_nc_u64_e32 v[56:57], -8, v[48:49]
	s_delay_alu instid0(VALU_DEP_1)
	v_lshl_add_u64 v[56:57], s[6:7], 3, v[56:57]
	ds_store_b64 v60, v[44:45]
	global_store_b64 v[50:51], v[54:55], off
	s_clause 0x1
	global_store_b64 v[48:49], v[42:43], off offset:-8
	global_store_b64 v[56:57], v[52:53], off offset:-8
	s_wait_xcnt 0x0
	v_cmpx_gt_i32_e64 v46, v36
	s_cbranch_execz .LBB22_191
; %bb.175:                              ;   in Loop: Header=BB22_151 Depth=2
	v_ashrrev_i32_e32 v47, 31, v46
	v_xor_b32_e32 v53, 0x80000000, v53
	s_mov_b32 s76, -1
	s_mov_b32 s39, 0
	s_mov_b64 s[78:79], s[62:63]
	v_lshlrev_b64_e32 v[46:47], 3, v[46:47]
	s_mov_b64 s[80:81], s[18:19]
	s_mov_b64 s[82:83], s[60:61]
	;; [unrolled: 1-line block ×3, first 2 shown]
	s_branch .LBB22_177
.LBB22_176:                             ;   in Loop: Header=BB22_177 Depth=3
	v_add_nc_u64_e32 v[58:59], s[80:81], v[46:47]
	s_add_co_i32 s76, s76, -1
	v_mul_f64_e32 v[42:43], v[42:43], v[48:49]
	v_add_f64_e32 v[48:49], v[56:57], v[56:57]
	v_add_nc_u64_e32 v[64:65], s[84:85], v[46:47]
	s_add_nc_u64 s[84:85], s[84:85], -8
	s_add_nc_u64 s[80:81], s[80:81], -8
	global_load_b128 v[50:53], v[58:59], off offset:-8
	s_add_nc_u64 s[78:79], s[78:79], -8
	v_add_nc_u32_e32 v3, s76, v2
	s_delay_alu instid0(VALU_DEP_1) | instskip(SKIP_4) | instid1(VALU_DEP_2)
	v_cmp_le_i32_e32 vcc_lo, v3, v36
	s_or_b32 s39, vcc_lo, s39
	s_wait_loadcnt 0x0
	v_dual_add_f64 v[40:41], v[52:53], -v[44:45] :: v_dual_mov_b32 v52, v54
	v_xor_b32_e32 v53, 0x80000000, v55
	v_add_f64_e64 v[44:45], v[50:51], -v[40:41]
	s_delay_alu instid0(VALU_DEP_1) | instskip(NEXT) | instid1(VALU_DEP_1)
	v_mul_f64_e32 v[44:45], v[54:55], v[44:45]
	v_fma_f64 v[48:49], v[42:43], v[48:49], -v[44:45]
	s_delay_alu instid0(VALU_DEP_1)
	v_fma_f64 v[50:51], v[48:49], -v[54:55], v[40:41]
	v_mul_f64_e64 v[44:45], v[48:49], -v[54:55]
	v_fma_f64 v[40:41], v[56:57], v[48:49], -v[42:43]
	v_mov_b64_e32 v[42:43], v[56:57]
	v_add_nc_u64_e32 v[48:49], s[82:83], v[46:47]
	s_add_nc_u64 s[82:83], s[82:83], -8
	global_store_b64 v[58:59], v[50:51], off
	global_store_b64 v[48:49], v[56:57], off
	;; [unrolled: 1-line block ×3, first 2 shown]
	s_wait_xcnt 0x0
	s_and_not1_b32 exec_lo, exec_lo, s39
	s_cbranch_execz .LBB22_190
.LBB22_177:                             ;   Parent Loop BB22_7 Depth=1
                                        ;     Parent Loop BB22_151 Depth=2
                                        ; =>    This Inner Loop Header: Depth=3
	s_delay_alu instid0(VALU_DEP_1)
	v_add_nc_u64_e32 v[50:51], s[78:79], v[46:47]
	v_mov_b64_e32 v[54:55], 0
	v_mov_b64_e32 v[56:57], 1.0
	s_mov_b32 s86, exec_lo
	global_load_b64 v[48:49], v[50:51], off
	s_wait_loadcnt 0x0
	v_mul_f64_e32 v[52:53], v[52:53], v[48:49]
	s_wait_xcnt 0x0
	s_delay_alu instid0(VALU_DEP_1)
	v_cmpx_neq_f64_e32 0, v[52:53]
	s_cbranch_execz .LBB22_187
; %bb.178:                              ;   in Loop: Header=BB22_177 Depth=3
	v_xor_b32_e32 v59, 0x80000000, v53
	v_mov_b32_e32 v58, v52
	s_mov_b32 s87, exec_lo
                                        ; implicit-def: $vgpr54_vgpr55
                                        ; implicit-def: $vgpr56_vgpr57
	v_cmpx_neq_f64_e32 0, v[40:41]
	s_xor_b32 s87, exec_lo, s87
	s_cbranch_execz .LBB22_184
; %bb.179:                              ;   in Loop: Header=BB22_177 Depth=3
	v_cmp_ngt_f64_e64 s88, |v[52:53]|, |v[40:41]|
                                        ; implicit-def: $vgpr54_vgpr55
                                        ; implicit-def: $vgpr56_vgpr57
	s_and_saveexec_b32 s89, s88
	s_delay_alu instid0(SALU_CYCLE_1)
	s_xor_b32 s88, exec_lo, s89
	s_cbranch_execz .LBB22_181
; %bb.180:                              ;   in Loop: Header=BB22_177 Depth=3
	v_div_scale_f64 v[54:55], null, v[40:41], v[40:41], -v[52:53]
	v_div_scale_f64 v[64:65], vcc_lo, -v[52:53], v[40:41], -v[52:53]
	s_delay_alu instid0(VALU_DEP_2) | instskip(SKIP_1) | instid1(TRANS32_DEP_1)
	v_rcp_f64_e32 v[56:57], v[54:55]
	v_nop
	v_fma_f64 v[58:59], -v[54:55], v[56:57], 1.0
	s_delay_alu instid0(VALU_DEP_1) | instskip(NEXT) | instid1(VALU_DEP_1)
	v_fmac_f64_e32 v[56:57], v[56:57], v[58:59]
	v_fma_f64 v[58:59], -v[54:55], v[56:57], 1.0
	s_delay_alu instid0(VALU_DEP_1) | instskip(NEXT) | instid1(VALU_DEP_1)
	v_fmac_f64_e32 v[56:57], v[56:57], v[58:59]
	v_mul_f64_e32 v[58:59], v[64:65], v[56:57]
	s_delay_alu instid0(VALU_DEP_1) | instskip(NEXT) | instid1(VALU_DEP_1)
	v_fma_f64 v[54:55], -v[54:55], v[58:59], v[64:65]
	v_div_fmas_f64 v[54:55], v[54:55], v[56:57], v[58:59]
	s_delay_alu instid0(VALU_DEP_1) | instskip(NEXT) | instid1(VALU_DEP_1)
	v_div_fixup_f64 v[54:55], v[54:55], v[40:41], -v[52:53]
	v_fma_f64 v[56:57], v[54:55], v[54:55], 1.0
	s_delay_alu instid0(VALU_DEP_1) | instskip(SKIP_1) | instid1(VALU_DEP_1)
	v_cmp_gt_f64_e32 vcc_lo, 0x10000000, v[56:57]
	v_cndmask_b32_e64 v3, 0, 0x100, vcc_lo
	v_ldexp_f64 v[56:57], v[56:57], v3
	v_cndmask_b32_e64 v3, 0, 0xffffff80, vcc_lo
	s_delay_alu instid0(VALU_DEP_2) | instskip(SKIP_1) | instid1(TRANS32_DEP_1)
	v_rsq_f64_e32 v[58:59], v[56:57]
	v_cmp_class_f64_e64 vcc_lo, v[56:57], 0x260
	v_mul_f64_e32 v[64:65], v[56:57], v[58:59]
	v_mul_f64_e32 v[58:59], 0.5, v[58:59]
	s_delay_alu instid0(VALU_DEP_1) | instskip(NEXT) | instid1(VALU_DEP_1)
	v_fma_f64 v[66:67], -v[58:59], v[64:65], 0.5
	v_fmac_f64_e32 v[64:65], v[64:65], v[66:67]
	v_fmac_f64_e32 v[58:59], v[58:59], v[66:67]
	s_delay_alu instid0(VALU_DEP_2) | instskip(NEXT) | instid1(VALU_DEP_1)
	v_fma_f64 v[66:67], -v[64:65], v[64:65], v[56:57]
	v_fmac_f64_e32 v[64:65], v[66:67], v[58:59]
	s_delay_alu instid0(VALU_DEP_1) | instskip(NEXT) | instid1(VALU_DEP_1)
	v_fma_f64 v[66:67], -v[64:65], v[64:65], v[56:57]
	v_fmac_f64_e32 v[64:65], v[66:67], v[58:59]
	s_delay_alu instid0(VALU_DEP_1) | instskip(NEXT) | instid1(VALU_DEP_1)
	v_ldexp_f64 v[58:59], v[64:65], v3
	v_dual_cndmask_b32 v57, v59, v57 :: v_dual_cndmask_b32 v56, v58, v56
	s_delay_alu instid0(VALU_DEP_1) | instskip(NEXT) | instid1(VALU_DEP_1)
	v_div_scale_f64 v[58:59], null, v[56:57], v[56:57], 1.0
	v_rcp_f64_e32 v[64:65], v[58:59]
	v_nop
	s_delay_alu instid0(TRANS32_DEP_1) | instskip(NEXT) | instid1(VALU_DEP_1)
	v_fma_f64 v[66:67], -v[58:59], v[64:65], 1.0
	v_fmac_f64_e32 v[64:65], v[64:65], v[66:67]
	s_delay_alu instid0(VALU_DEP_1) | instskip(NEXT) | instid1(VALU_DEP_1)
	v_fma_f64 v[66:67], -v[58:59], v[64:65], 1.0
	v_fmac_f64_e32 v[64:65], v[64:65], v[66:67]
	v_div_scale_f64 v[66:67], vcc_lo, 1.0, v[56:57], 1.0
	s_delay_alu instid0(VALU_DEP_1) | instskip(NEXT) | instid1(VALU_DEP_1)
	v_mul_f64_e32 v[68:69], v[66:67], v[64:65]
	v_fma_f64 v[58:59], -v[58:59], v[68:69], v[66:67]
	s_delay_alu instid0(VALU_DEP_1) | instskip(NEXT) | instid1(VALU_DEP_1)
	v_div_fmas_f64 v[58:59], v[58:59], v[64:65], v[68:69]
	v_div_fixup_f64 v[56:57], v[58:59], v[56:57], 1.0
	s_delay_alu instid0(VALU_DEP_1)
	v_mul_f64_e32 v[54:55], v[54:55], v[56:57]
.LBB22_181:                             ;   in Loop: Header=BB22_177 Depth=3
	s_and_not1_saveexec_b32 s88, s88
	s_cbranch_execz .LBB22_183
; %bb.182:                              ;   in Loop: Header=BB22_177 Depth=3
	v_div_scale_f64 v[54:55], null, v[52:53], v[52:53], -v[40:41]
	v_div_scale_f64 v[64:65], vcc_lo, -v[40:41], v[52:53], -v[40:41]
	s_delay_alu instid0(VALU_DEP_2) | instskip(SKIP_1) | instid1(TRANS32_DEP_1)
	v_rcp_f64_e32 v[56:57], v[54:55]
	v_nop
	v_fma_f64 v[58:59], -v[54:55], v[56:57], 1.0
	s_delay_alu instid0(VALU_DEP_1) | instskip(NEXT) | instid1(VALU_DEP_1)
	v_fmac_f64_e32 v[56:57], v[56:57], v[58:59]
	v_fma_f64 v[58:59], -v[54:55], v[56:57], 1.0
	s_delay_alu instid0(VALU_DEP_1) | instskip(NEXT) | instid1(VALU_DEP_1)
	v_fmac_f64_e32 v[56:57], v[56:57], v[58:59]
	v_mul_f64_e32 v[58:59], v[64:65], v[56:57]
	s_delay_alu instid0(VALU_DEP_1) | instskip(NEXT) | instid1(VALU_DEP_1)
	v_fma_f64 v[54:55], -v[54:55], v[58:59], v[64:65]
	v_div_fmas_f64 v[54:55], v[54:55], v[56:57], v[58:59]
	s_delay_alu instid0(VALU_DEP_1) | instskip(NEXT) | instid1(VALU_DEP_1)
	v_div_fixup_f64 v[56:57], v[54:55], v[52:53], -v[40:41]
	v_fma_f64 v[54:55], v[56:57], v[56:57], 1.0
	s_delay_alu instid0(VALU_DEP_1) | instskip(SKIP_1) | instid1(VALU_DEP_1)
	v_cmp_gt_f64_e32 vcc_lo, 0x10000000, v[54:55]
	v_cndmask_b32_e64 v3, 0, 0x100, vcc_lo
	v_ldexp_f64 v[54:55], v[54:55], v3
	v_cndmask_b32_e64 v3, 0, 0xffffff80, vcc_lo
	s_delay_alu instid0(VALU_DEP_2) | instskip(SKIP_1) | instid1(TRANS32_DEP_1)
	v_rsq_f64_e32 v[58:59], v[54:55]
	v_cmp_class_f64_e64 vcc_lo, v[54:55], 0x260
	v_mul_f64_e32 v[64:65], v[54:55], v[58:59]
	v_mul_f64_e32 v[58:59], 0.5, v[58:59]
	s_delay_alu instid0(VALU_DEP_1) | instskip(NEXT) | instid1(VALU_DEP_1)
	v_fma_f64 v[66:67], -v[58:59], v[64:65], 0.5
	v_fmac_f64_e32 v[64:65], v[64:65], v[66:67]
	v_fmac_f64_e32 v[58:59], v[58:59], v[66:67]
	s_delay_alu instid0(VALU_DEP_2) | instskip(NEXT) | instid1(VALU_DEP_1)
	v_fma_f64 v[66:67], -v[64:65], v[64:65], v[54:55]
	v_fmac_f64_e32 v[64:65], v[66:67], v[58:59]
	s_delay_alu instid0(VALU_DEP_1) | instskip(NEXT) | instid1(VALU_DEP_1)
	v_fma_f64 v[66:67], -v[64:65], v[64:65], v[54:55]
	v_fmac_f64_e32 v[64:65], v[66:67], v[58:59]
	s_delay_alu instid0(VALU_DEP_1) | instskip(NEXT) | instid1(VALU_DEP_1)
	v_ldexp_f64 v[58:59], v[64:65], v3
	v_dual_cndmask_b32 v55, v59, v55 :: v_dual_cndmask_b32 v54, v58, v54
	s_delay_alu instid0(VALU_DEP_1) | instskip(NEXT) | instid1(VALU_DEP_1)
	v_div_scale_f64 v[58:59], null, v[54:55], v[54:55], 1.0
	v_rcp_f64_e32 v[64:65], v[58:59]
	v_nop
	s_delay_alu instid0(TRANS32_DEP_1) | instskip(NEXT) | instid1(VALU_DEP_1)
	v_fma_f64 v[66:67], -v[58:59], v[64:65], 1.0
	v_fmac_f64_e32 v[64:65], v[64:65], v[66:67]
	s_delay_alu instid0(VALU_DEP_1) | instskip(NEXT) | instid1(VALU_DEP_1)
	v_fma_f64 v[66:67], -v[58:59], v[64:65], 1.0
	v_fmac_f64_e32 v[64:65], v[64:65], v[66:67]
	v_div_scale_f64 v[66:67], vcc_lo, 1.0, v[54:55], 1.0
	s_delay_alu instid0(VALU_DEP_1) | instskip(NEXT) | instid1(VALU_DEP_1)
	v_mul_f64_e32 v[68:69], v[66:67], v[64:65]
	v_fma_f64 v[58:59], -v[58:59], v[68:69], v[66:67]
	s_delay_alu instid0(VALU_DEP_1) | instskip(NEXT) | instid1(VALU_DEP_1)
	v_div_fmas_f64 v[58:59], v[58:59], v[64:65], v[68:69]
	v_div_fixup_f64 v[54:55], v[58:59], v[54:55], 1.0
	s_delay_alu instid0(VALU_DEP_1)
	v_mul_f64_e32 v[56:57], v[56:57], v[54:55]
.LBB22_183:                             ;   in Loop: Header=BB22_177 Depth=3
	s_or_b32 exec_lo, exec_lo, s88
	s_delay_alu instid0(VALU_DEP_1) | instskip(NEXT) | instid1(VALU_DEP_1)
	v_mul_f64_e32 v[52:53], v[52:53], v[54:55]
	v_fma_f64 v[58:59], v[40:41], v[56:57], -v[52:53]
.LBB22_184:                             ;   in Loop: Header=BB22_177 Depth=3
	s_and_not1_saveexec_b32 s87, s87
; %bb.185:                              ;   in Loop: Header=BB22_177 Depth=3
	v_mov_b64_e32 v[56:57], 0
	v_mov_b64_e32 v[54:55], 1.0
; %bb.186:                              ;   in Loop: Header=BB22_177 Depth=3
	s_or_b32 exec_lo, exec_lo, s87
	s_delay_alu instid0(VALU_DEP_3)
	v_mov_b64_e32 v[40:41], v[58:59]
.LBB22_187:                             ;   in Loop: Header=BB22_177 Depth=3
	s_or_b32 exec_lo, exec_lo, s86
	s_cmp_eq_u32 s76, 0
	s_cbranch_scc1 .LBB22_176
; %bb.188:                              ;   in Loop: Header=BB22_177 Depth=3
	global_store_b64 v[50:51], v[40:41], off offset:8
	s_branch .LBB22_176
.LBB22_189:                             ;   in Loop: Header=BB22_151 Depth=2
	ds_store_2addr_b32 v60, v2, v36 offset0:5 offset1:7
	s_cbranch_execz .LBB22_162
	s_branch .LBB22_163
.LBB22_190:                             ;   in Loop: Header=BB22_151 Depth=2
	s_or_b32 exec_lo, exec_lo, s39
	ds_store_b64 v60, v[44:45]
.LBB22_191:                             ;   in Loop: Header=BB22_151 Depth=2
	s_or_b32 exec_lo, exec_lo, s37
	global_load_b64 v[48:49], v[38:39], off
.LBB22_192:                             ;   in Loop: Header=BB22_151 Depth=2
	s_wait_xcnt 0x0
	s_or_b32 exec_lo, exec_lo, s33
	s_wait_loadcnt 0x0
	v_add_f64_e64 v[2:3], v[48:49], -v[44:45]
                                        ; implicit-def: $vgpr36
                                        ; implicit-def: $vgpr48_vgpr49
	global_store_b64 v[38:39], v[2:3], off
	global_store_b64 v[4:5], v[40:41], off
                                        ; implicit-def: $vgpr40_vgpr41
                                        ; implicit-def: $vgpr38_vgpr39
.LBB22_193:                             ;   in Loop: Header=BB22_151 Depth=2
	s_wait_xcnt 0x0
	s_and_not1_saveexec_b32 s33, s5
	s_cbranch_execz .LBB22_230
; %bb.194:                              ;   in Loop: Header=BB22_151 Depth=2
	v_lshl_add_u64 v[42:43], v[40:41], 3, s[46:47]
                                        ; implicit-def: $vgpr52_vgpr53
	global_load_b64 v[2:3], v[38:39], off offset:8
	global_load_b64 v[50:51], v[42:43], off
	s_wait_loadcnt 0x1
	v_add_f64_e64 v[46:47], v[48:49], -v[2:3]
	s_wait_loadcnt 0x0
	v_add_f64_e32 v[44:45], v[50:51], v[50:51]
	s_delay_alu instid0(VALU_DEP_1) | instskip(SKIP_2) | instid1(SALU_CYCLE_1)
	v_cmp_ngt_f64_e64 s5, |v[46:47]|, |v[44:45]|
	s_wait_xcnt 0x0
	s_and_saveexec_b32 s37, s5
	s_xor_b32 s5, exec_lo, s37
	s_cbranch_execz .LBB22_200
; %bb.195:                              ;   in Loop: Header=BB22_151 Depth=2
	v_cmp_nlt_f64_e64 s37, |v[46:47]|, |v[44:45]|
                                        ; implicit-def: $vgpr52_vgpr53
	s_and_saveexec_b32 s39, s37
	s_delay_alu instid0(SALU_CYCLE_1)
	s_xor_b32 s37, exec_lo, s39
; %bb.196:                              ;   in Loop: Header=BB22_151 Depth=2
	v_mul_f64_e64 v[52:53], |v[44:45]|, s[66:67]
; %bb.197:                              ;   in Loop: Header=BB22_151 Depth=2
	s_and_not1_saveexec_b32 s37, s37
	s_cbranch_execz .LBB22_199
; %bb.198:                              ;   in Loop: Header=BB22_151 Depth=2
	v_and_b32_e32 v5, 0x7fffffff, v47
	v_dual_mov_b32 v4, v46 :: v_dual_mov_b32 v52, v44
	v_and_b32_e32 v53, 0x7fffffff, v45
	s_delay_alu instid0(VALU_DEP_1) | instskip(SKIP_1) | instid1(VALU_DEP_2)
	v_div_scale_f64 v[54:55], null, v[52:53], v[52:53], v[4:5]
	v_div_scale_f64 v[4:5], vcc_lo, v[4:5], v[52:53], v[4:5]
	v_rcp_f64_e32 v[56:57], v[54:55]
	v_nop
	s_delay_alu instid0(TRANS32_DEP_1) | instskip(NEXT) | instid1(VALU_DEP_1)
	v_fma_f64 v[58:59], -v[54:55], v[56:57], 1.0
	v_fmac_f64_e32 v[56:57], v[56:57], v[58:59]
	s_delay_alu instid0(VALU_DEP_1) | instskip(NEXT) | instid1(VALU_DEP_1)
	v_fma_f64 v[58:59], -v[54:55], v[56:57], 1.0
	v_fmac_f64_e32 v[56:57], v[56:57], v[58:59]
	s_delay_alu instid0(VALU_DEP_1) | instskip(NEXT) | instid1(VALU_DEP_1)
	v_mul_f64_e32 v[52:53], v[4:5], v[56:57]
	v_fma_f64 v[4:5], -v[54:55], v[52:53], v[4:5]
	s_delay_alu instid0(VALU_DEP_1) | instskip(NEXT) | instid1(VALU_DEP_1)
	v_div_fmas_f64 v[4:5], v[4:5], v[56:57], v[52:53]
	v_div_fixup_f64 v[4:5], v[4:5], |v[44:45]|, |v[46:47]|
	s_delay_alu instid0(VALU_DEP_1) | instskip(NEXT) | instid1(VALU_DEP_1)
	v_fma_f64 v[4:5], v[4:5], v[4:5], 1.0
	v_cmp_gt_f64_e32 vcc_lo, 0x10000000, v[4:5]
	v_cndmask_b32_e64 v37, 0, 0x100, vcc_lo
	s_delay_alu instid0(VALU_DEP_1) | instskip(SKIP_1) | instid1(VALU_DEP_2)
	v_ldexp_f64 v[4:5], v[4:5], v37
	v_cndmask_b32_e64 v37, 0, 0xffffff80, vcc_lo
	v_rsq_f64_e32 v[52:53], v[4:5]
	v_cmp_class_f64_e64 vcc_lo, v[4:5], 0x260
	s_delay_alu instid0(TRANS32_DEP_1) | instskip(SKIP_1) | instid1(VALU_DEP_1)
	v_mul_f64_e32 v[54:55], v[4:5], v[52:53]
	v_mul_f64_e32 v[52:53], 0.5, v[52:53]
	v_fma_f64 v[56:57], -v[52:53], v[54:55], 0.5
	s_delay_alu instid0(VALU_DEP_1) | instskip(SKIP_1) | instid1(VALU_DEP_2)
	v_fmac_f64_e32 v[54:55], v[54:55], v[56:57]
	v_fmac_f64_e32 v[52:53], v[52:53], v[56:57]
	v_fma_f64 v[58:59], -v[54:55], v[54:55], v[4:5]
	s_delay_alu instid0(VALU_DEP_1) | instskip(NEXT) | instid1(VALU_DEP_1)
	v_fmac_f64_e32 v[54:55], v[58:59], v[52:53]
	v_fma_f64 v[56:57], -v[54:55], v[54:55], v[4:5]
	s_delay_alu instid0(VALU_DEP_1) | instskip(NEXT) | instid1(VALU_DEP_1)
	v_fmac_f64_e32 v[54:55], v[56:57], v[52:53]
	v_ldexp_f64 v[52:53], v[54:55], v37
	s_delay_alu instid0(VALU_DEP_1) | instskip(NEXT) | instid1(VALU_DEP_1)
	v_dual_cndmask_b32 v5, v53, v5 :: v_dual_cndmask_b32 v4, v52, v4
	v_mul_f64_e64 v[52:53], |v[44:45]|, v[4:5]
.LBB22_199:                             ;   in Loop: Header=BB22_151 Depth=2
	s_or_b32 exec_lo, exec_lo, s37
.LBB22_200:                             ;   in Loop: Header=BB22_151 Depth=2
	s_and_not1_saveexec_b32 s5, s5
	s_cbranch_execz .LBB22_202
; %bb.201:                              ;   in Loop: Header=BB22_151 Depth=2
	v_and_b32_e32 v5, 0x7fffffff, v45
	v_dual_mov_b32 v4, v44 :: v_dual_mov_b32 v52, v46
	v_and_b32_e32 v53, 0x7fffffff, v47
	s_delay_alu instid0(VALU_DEP_1) | instskip(SKIP_1) | instid1(VALU_DEP_2)
	v_div_scale_f64 v[54:55], null, v[52:53], v[52:53], v[4:5]
	v_div_scale_f64 v[4:5], vcc_lo, v[4:5], v[52:53], v[4:5]
	v_rcp_f64_e32 v[56:57], v[54:55]
	v_nop
	s_delay_alu instid0(TRANS32_DEP_1) | instskip(NEXT) | instid1(VALU_DEP_1)
	v_fma_f64 v[58:59], -v[54:55], v[56:57], 1.0
	v_fmac_f64_e32 v[56:57], v[56:57], v[58:59]
	s_delay_alu instid0(VALU_DEP_1) | instskip(NEXT) | instid1(VALU_DEP_1)
	v_fma_f64 v[58:59], -v[54:55], v[56:57], 1.0
	v_fmac_f64_e32 v[56:57], v[56:57], v[58:59]
	s_delay_alu instid0(VALU_DEP_1) | instskip(NEXT) | instid1(VALU_DEP_1)
	v_mul_f64_e32 v[52:53], v[4:5], v[56:57]
	v_fma_f64 v[4:5], -v[54:55], v[52:53], v[4:5]
	s_delay_alu instid0(VALU_DEP_1) | instskip(NEXT) | instid1(VALU_DEP_1)
	v_div_fmas_f64 v[4:5], v[4:5], v[56:57], v[52:53]
	v_div_fixup_f64 v[4:5], v[4:5], |v[46:47]|, |v[44:45]|
	s_delay_alu instid0(VALU_DEP_1) | instskip(NEXT) | instid1(VALU_DEP_1)
	v_fma_f64 v[4:5], v[4:5], v[4:5], 1.0
	v_cmp_gt_f64_e32 vcc_lo, 0x10000000, v[4:5]
	v_cndmask_b32_e64 v37, 0, 0x100, vcc_lo
	s_delay_alu instid0(VALU_DEP_1) | instskip(SKIP_1) | instid1(VALU_DEP_2)
	v_ldexp_f64 v[4:5], v[4:5], v37
	v_cndmask_b32_e64 v37, 0, 0xffffff80, vcc_lo
	v_rsq_f64_e32 v[52:53], v[4:5]
	v_cmp_class_f64_e64 vcc_lo, v[4:5], 0x260
	s_delay_alu instid0(TRANS32_DEP_1) | instskip(SKIP_1) | instid1(VALU_DEP_1)
	v_mul_f64_e32 v[54:55], v[4:5], v[52:53]
	v_mul_f64_e32 v[52:53], 0.5, v[52:53]
	v_fma_f64 v[56:57], -v[52:53], v[54:55], 0.5
	s_delay_alu instid0(VALU_DEP_1) | instskip(SKIP_1) | instid1(VALU_DEP_2)
	v_fmac_f64_e32 v[54:55], v[54:55], v[56:57]
	v_fmac_f64_e32 v[52:53], v[52:53], v[56:57]
	v_fma_f64 v[58:59], -v[54:55], v[54:55], v[4:5]
	s_delay_alu instid0(VALU_DEP_1) | instskip(NEXT) | instid1(VALU_DEP_1)
	v_fmac_f64_e32 v[54:55], v[58:59], v[52:53]
	v_fma_f64 v[56:57], -v[54:55], v[54:55], v[4:5]
	s_delay_alu instid0(VALU_DEP_1) | instskip(NEXT) | instid1(VALU_DEP_1)
	v_fmac_f64_e32 v[54:55], v[56:57], v[52:53]
	v_ldexp_f64 v[52:53], v[54:55], v37
	s_delay_alu instid0(VALU_DEP_1) | instskip(NEXT) | instid1(VALU_DEP_1)
	v_dual_cndmask_b32 v5, v53, v5 :: v_dual_cndmask_b32 v4, v52, v4
	v_mul_f64_e64 v[52:53], |v[46:47]|, v[4:5]
.LBB22_202:                             ;   in Loop: Header=BB22_151 Depth=2
	s_or_b32 exec_lo, exec_lo, s5
	v_cmp_gt_f64_e64 vcc_lo, |v[48:49]|, |v[2:3]|
	v_add_f64_e32 v[56:57], v[48:49], v[2:3]
	s_mov_b32 s37, exec_lo
	v_dual_cndmask_b32 v55, v49, v3 :: v_dual_cndmask_b32 v54, v48, v2
	v_dual_cndmask_b32 v49, v3, v49 :: v_dual_cndmask_b32 v48, v2, v48
                                        ; implicit-def: $vgpr4_vgpr5
	s_delay_alu instid0(VALU_DEP_3)
	v_cmpx_ngt_f64_e32 0, v[56:57]
	s_xor_b32 s37, exec_lo, s37
	s_cbranch_execz .LBB22_208
; %bb.203:                              ;   in Loop: Header=BB22_151 Depth=2
	s_mov_b32 s5, exec_lo
                                        ; implicit-def: $vgpr4_vgpr5
	v_cmpx_nlt_f64_e32 0, v[56:57]
	s_xor_b32 s5, exec_lo, s5
	s_cbranch_execz .LBB22_205
; %bb.204:                              ;   in Loop: Header=BB22_151 Depth=2
	v_mul_f64_e32 v[2:3], 0.5, v[52:53]
	v_mul_f64_e32 v[4:5], -0.5, v[52:53]
                                        ; implicit-def: $vgpr56_vgpr57
                                        ; implicit-def: $vgpr48_vgpr49
                                        ; implicit-def: $vgpr50_vgpr51
                                        ; implicit-def: $vgpr54_vgpr55
.LBB22_205:                             ;   in Loop: Header=BB22_151 Depth=2
	s_and_not1_saveexec_b32 s39, s5
	s_cbranch_execz .LBB22_207
; %bb.206:                              ;   in Loop: Header=BB22_151 Depth=2
	v_add_f64_e32 v[2:3], v[56:57], v[52:53]
	s_delay_alu instid0(VALU_DEP_1) | instskip(NEXT) | instid1(VALU_DEP_1)
	v_mul_f64_e32 v[2:3], 0.5, v[2:3]
	v_div_scale_f64 v[4:5], null, v[2:3], v[2:3], v[48:49]
	v_div_scale_f64 v[56:57], null, v[2:3], v[2:3], v[50:51]
	v_div_scale_f64 v[70:71], vcc_lo, v[48:49], v[2:3], v[48:49]
	s_delay_alu instid0(VALU_DEP_3) | instskip(NEXT) | instid1(VALU_DEP_2)
	v_rcp_f64_e32 v[58:59], v[4:5]
	v_rcp_f64_e32 v[64:65], v[56:57]
	s_delay_alu instid0(TRANS32_DEP_2) | instskip(NEXT) | instid1(TRANS32_DEP_1)
	v_fma_f64 v[66:67], -v[4:5], v[58:59], 1.0
	v_fma_f64 v[68:69], -v[56:57], v[64:65], 1.0
	s_delay_alu instid0(VALU_DEP_2) | instskip(NEXT) | instid1(VALU_DEP_2)
	v_fmac_f64_e32 v[58:59], v[58:59], v[66:67]
	v_fmac_f64_e32 v[64:65], v[64:65], v[68:69]
	s_delay_alu instid0(VALU_DEP_2) | instskip(NEXT) | instid1(VALU_DEP_2)
	v_fma_f64 v[66:67], -v[4:5], v[58:59], 1.0
	v_fma_f64 v[68:69], -v[56:57], v[64:65], 1.0
	s_delay_alu instid0(VALU_DEP_2) | instskip(SKIP_1) | instid1(VALU_DEP_3)
	v_fmac_f64_e32 v[58:59], v[58:59], v[66:67]
	v_div_scale_f64 v[66:67], s5, v[50:51], v[2:3], v[50:51]
	v_fmac_f64_e32 v[64:65], v[64:65], v[68:69]
	s_delay_alu instid0(VALU_DEP_3) | instskip(NEXT) | instid1(VALU_DEP_2)
	v_mul_f64_e32 v[68:69], v[70:71], v[58:59]
	v_mul_f64_e32 v[72:73], v[66:67], v[64:65]
	s_delay_alu instid0(VALU_DEP_2) | instskip(NEXT) | instid1(VALU_DEP_2)
	v_fma_f64 v[4:5], -v[4:5], v[68:69], v[70:71]
	v_fma_f64 v[56:57], -v[56:57], v[72:73], v[66:67]
	s_delay_alu instid0(VALU_DEP_2) | instskip(SKIP_1) | instid1(VALU_DEP_2)
	v_div_fmas_f64 v[4:5], v[4:5], v[58:59], v[68:69]
	s_mov_b32 vcc_lo, s5
	v_div_fmas_f64 v[56:57], v[56:57], v[64:65], v[72:73]
	s_delay_alu instid0(VALU_DEP_2) | instskip(NEXT) | instid1(VALU_DEP_2)
	v_div_fixup_f64 v[4:5], v[4:5], v[2:3], v[48:49]
	v_div_fixup_f64 v[56:57], v[56:57], v[2:3], v[50:51]
	s_delay_alu instid0(VALU_DEP_1) | instskip(NEXT) | instid1(VALU_DEP_1)
	v_mul_f64_e32 v[48:49], v[50:51], v[56:57]
	v_fma_f64 v[4:5], v[54:55], v[4:5], -v[48:49]
.LBB22_207:                             ;   in Loop: Header=BB22_151 Depth=2
	s_or_b32 exec_lo, exec_lo, s39
                                        ; implicit-def: $vgpr56_vgpr57
                                        ; implicit-def: $vgpr48_vgpr49
                                        ; implicit-def: $vgpr50_vgpr51
                                        ; implicit-def: $vgpr54_vgpr55
.LBB22_208:                             ;   in Loop: Header=BB22_151 Depth=2
	s_or_saveexec_b32 s37, s37
	v_mov_b32_e32 v37, 1
	s_xor_b32 exec_lo, exec_lo, s37
	s_cbranch_execz .LBB22_210
; %bb.209:                              ;   in Loop: Header=BB22_151 Depth=2
	v_dual_add_f64 v[2:3], v[56:57], -v[52:53] :: v_dual_mov_b32 v37, -1
	s_delay_alu instid0(VALU_DEP_1) | instskip(NEXT) | instid1(VALU_DEP_1)
	v_mul_f64_e32 v[2:3], 0.5, v[2:3]
	v_div_scale_f64 v[4:5], null, v[2:3], v[2:3], v[48:49]
	v_div_scale_f64 v[56:57], null, v[2:3], v[2:3], v[50:51]
	v_div_scale_f64 v[70:71], vcc_lo, v[48:49], v[2:3], v[48:49]
	s_delay_alu instid0(VALU_DEP_3) | instskip(NEXT) | instid1(VALU_DEP_2)
	v_rcp_f64_e32 v[58:59], v[4:5]
	v_rcp_f64_e32 v[64:65], v[56:57]
	s_delay_alu instid0(TRANS32_DEP_2) | instskip(NEXT) | instid1(TRANS32_DEP_1)
	v_fma_f64 v[66:67], -v[4:5], v[58:59], 1.0
	v_fma_f64 v[68:69], -v[56:57], v[64:65], 1.0
	s_delay_alu instid0(VALU_DEP_2) | instskip(NEXT) | instid1(VALU_DEP_2)
	v_fmac_f64_e32 v[58:59], v[58:59], v[66:67]
	v_fmac_f64_e32 v[64:65], v[64:65], v[68:69]
	s_delay_alu instid0(VALU_DEP_2) | instskip(NEXT) | instid1(VALU_DEP_2)
	v_fma_f64 v[66:67], -v[4:5], v[58:59], 1.0
	v_fma_f64 v[68:69], -v[56:57], v[64:65], 1.0
	s_delay_alu instid0(VALU_DEP_2) | instskip(SKIP_1) | instid1(VALU_DEP_3)
	v_fmac_f64_e32 v[58:59], v[58:59], v[66:67]
	v_div_scale_f64 v[66:67], s5, v[50:51], v[2:3], v[50:51]
	v_fmac_f64_e32 v[64:65], v[64:65], v[68:69]
	s_delay_alu instid0(VALU_DEP_3) | instskip(NEXT) | instid1(VALU_DEP_2)
	v_mul_f64_e32 v[68:69], v[70:71], v[58:59]
	v_mul_f64_e32 v[72:73], v[66:67], v[64:65]
	s_delay_alu instid0(VALU_DEP_2) | instskip(NEXT) | instid1(VALU_DEP_2)
	v_fma_f64 v[4:5], -v[4:5], v[68:69], v[70:71]
	v_fma_f64 v[56:57], -v[56:57], v[72:73], v[66:67]
	s_delay_alu instid0(VALU_DEP_2) | instskip(SKIP_1) | instid1(VALU_DEP_2)
	v_div_fmas_f64 v[4:5], v[4:5], v[58:59], v[68:69]
	s_mov_b32 vcc_lo, s5
	v_div_fmas_f64 v[56:57], v[56:57], v[64:65], v[72:73]
	s_delay_alu instid0(VALU_DEP_2) | instskip(NEXT) | instid1(VALU_DEP_2)
	v_div_fixup_f64 v[4:5], v[4:5], v[2:3], v[48:49]
	v_div_fixup_f64 v[56:57], v[56:57], v[2:3], v[50:51]
	s_delay_alu instid0(VALU_DEP_1) | instskip(NEXT) | instid1(VALU_DEP_1)
	v_mul_f64_e32 v[48:49], v[50:51], v[56:57]
	v_fma_f64 v[4:5], v[54:55], v[4:5], -v[48:49]
.LBB22_210:                             ;   in Loop: Header=BB22_151 Depth=2
	s_or_b32 exec_lo, exec_lo, s37
	s_delay_alu instid0(SALU_CYCLE_1)
	s_mov_b32 s5, exec_lo
                                        ; implicit-def: $vgpr48_vgpr49
	v_cmpx_le_f64_e32 0, v[46:47]
	s_xor_b32 s5, exec_lo, s5
; %bb.211:                              ;   in Loop: Header=BB22_151 Depth=2
	v_add_f64_e32 v[48:49], v[46:47], v[52:53]
                                        ; implicit-def: $vgpr52_vgpr53
                                        ; implicit-def: $vgpr46_vgpr47
; %bb.212:                              ;   in Loop: Header=BB22_151 Depth=2
	s_or_saveexec_b32 s5, s5
	v_mov_b32_e32 v54, 1
	s_xor_b32 exec_lo, exec_lo, s5
; %bb.213:                              ;   in Loop: Header=BB22_151 Depth=2
	v_dual_add_f64 v[48:49], v[46:47], -v[52:53] :: v_dual_mov_b32 v54, -1
; %bb.214:                              ;   in Loop: Header=BB22_151 Depth=2
	s_or_b32 exec_lo, exec_lo, s5
	s_delay_alu instid0(VALU_DEP_1) | instskip(SKIP_1) | instid1(SALU_CYCLE_1)
	v_cmp_ngt_f64_e64 s5, |v[48:49]|, |v[44:45]|
                                        ; implicit-def: $vgpr50_vgpr51
                                        ; implicit-def: $vgpr46_vgpr47
	s_and_saveexec_b32 s37, s5
	s_xor_b32 s5, exec_lo, s37
	s_cbranch_execz .LBB22_218
; %bb.215:                              ;   in Loop: Header=BB22_151 Depth=2
	v_mov_b64_e32 v[46:47], 0
	v_mov_b64_e32 v[50:51], 1.0
	s_mov_b32 s37, exec_lo
	v_cmpx_neq_f64_e32 0, v[44:45]
	s_cbranch_execz .LBB22_217
; %bb.216:                              ;   in Loop: Header=BB22_151 Depth=2
	v_div_scale_f64 v[46:47], null, v[44:45], v[44:45], -v[48:49]
	v_div_scale_f64 v[56:57], vcc_lo, -v[48:49], v[44:45], -v[48:49]
	s_delay_alu instid0(VALU_DEP_2) | instskip(SKIP_1) | instid1(TRANS32_DEP_1)
	v_rcp_f64_e32 v[50:51], v[46:47]
	v_nop
	v_fma_f64 v[52:53], -v[46:47], v[50:51], 1.0
	s_delay_alu instid0(VALU_DEP_1) | instskip(NEXT) | instid1(VALU_DEP_1)
	v_fmac_f64_e32 v[50:51], v[50:51], v[52:53]
	v_fma_f64 v[52:53], -v[46:47], v[50:51], 1.0
	s_delay_alu instid0(VALU_DEP_1) | instskip(NEXT) | instid1(VALU_DEP_1)
	v_fmac_f64_e32 v[50:51], v[50:51], v[52:53]
	v_mul_f64_e32 v[52:53], v[56:57], v[50:51]
	s_delay_alu instid0(VALU_DEP_1) | instskip(NEXT) | instid1(VALU_DEP_1)
	v_fma_f64 v[46:47], -v[46:47], v[52:53], v[56:57]
	v_div_fmas_f64 v[46:47], v[46:47], v[50:51], v[52:53]
	s_delay_alu instid0(VALU_DEP_1) | instskip(NEXT) | instid1(VALU_DEP_1)
	v_div_fixup_f64 v[44:45], v[46:47], v[44:45], -v[48:49]
	v_fma_f64 v[46:47], v[44:45], v[44:45], 1.0
	s_delay_alu instid0(VALU_DEP_1) | instskip(SKIP_1) | instid1(VALU_DEP_1)
	v_cmp_gt_f64_e32 vcc_lo, 0x10000000, v[46:47]
	v_cndmask_b32_e64 v48, 0, 0x100, vcc_lo
	v_ldexp_f64 v[46:47], v[46:47], v48
	s_delay_alu instid0(VALU_DEP_1) | instskip(SKIP_1) | instid1(TRANS32_DEP_1)
	v_rsq_f64_e32 v[48:49], v[46:47]
	v_nop
	v_mul_f64_e32 v[50:51], v[46:47], v[48:49]
	v_mul_f64_e32 v[48:49], 0.5, v[48:49]
	s_delay_alu instid0(VALU_DEP_1) | instskip(NEXT) | instid1(VALU_DEP_1)
	v_fma_f64 v[52:53], -v[48:49], v[50:51], 0.5
	v_fmac_f64_e32 v[50:51], v[50:51], v[52:53]
	v_fmac_f64_e32 v[48:49], v[48:49], v[52:53]
	s_delay_alu instid0(VALU_DEP_2) | instskip(NEXT) | instid1(VALU_DEP_1)
	v_fma_f64 v[52:53], -v[50:51], v[50:51], v[46:47]
	v_fmac_f64_e32 v[50:51], v[52:53], v[48:49]
	s_delay_alu instid0(VALU_DEP_1) | instskip(NEXT) | instid1(VALU_DEP_1)
	v_fma_f64 v[52:53], -v[50:51], v[50:51], v[46:47]
	v_fmac_f64_e32 v[50:51], v[52:53], v[48:49]
	v_cndmask_b32_e64 v48, 0, 0xffffff80, vcc_lo
	v_cmp_class_f64_e64 vcc_lo, v[46:47], 0x260
	s_delay_alu instid0(VALU_DEP_2) | instskip(NEXT) | instid1(VALU_DEP_1)
	v_ldexp_f64 v[48:49], v[50:51], v48
	v_dual_cndmask_b32 v47, v49, v47 :: v_dual_cndmask_b32 v46, v48, v46
	s_delay_alu instid0(VALU_DEP_1) | instskip(NEXT) | instid1(VALU_DEP_1)
	v_div_scale_f64 v[48:49], null, v[46:47], v[46:47], 1.0
	v_rcp_f64_e32 v[50:51], v[48:49]
	v_nop
	s_delay_alu instid0(TRANS32_DEP_1) | instskip(NEXT) | instid1(VALU_DEP_1)
	v_fma_f64 v[52:53], -v[48:49], v[50:51], 1.0
	v_fmac_f64_e32 v[50:51], v[50:51], v[52:53]
	s_delay_alu instid0(VALU_DEP_1) | instskip(NEXT) | instid1(VALU_DEP_1)
	v_fma_f64 v[52:53], -v[48:49], v[50:51], 1.0
	v_fmac_f64_e32 v[50:51], v[50:51], v[52:53]
	v_div_scale_f64 v[52:53], vcc_lo, 1.0, v[46:47], 1.0
	s_delay_alu instid0(VALU_DEP_1) | instskip(NEXT) | instid1(VALU_DEP_1)
	v_mul_f64_e32 v[56:57], v[52:53], v[50:51]
	v_fma_f64 v[48:49], -v[48:49], v[56:57], v[52:53]
	s_delay_alu instid0(VALU_DEP_1) | instskip(NEXT) | instid1(VALU_DEP_1)
	v_div_fmas_f64 v[48:49], v[48:49], v[50:51], v[56:57]
	v_div_fixup_f64 v[50:51], v[48:49], v[46:47], 1.0
	s_delay_alu instid0(VALU_DEP_1)
	v_mul_f64_e32 v[46:47], v[44:45], v[50:51]
.LBB22_217:                             ;   in Loop: Header=BB22_151 Depth=2
	s_or_b32 exec_lo, exec_lo, s37
                                        ; implicit-def: $vgpr48_vgpr49
                                        ; implicit-def: $vgpr44_vgpr45
.LBB22_218:                             ;   in Loop: Header=BB22_151 Depth=2
	s_and_not1_saveexec_b32 s5, s5
	s_cbranch_execz .LBB22_220
; %bb.219:                              ;   in Loop: Header=BB22_151 Depth=2
	v_div_scale_f64 v[46:47], null, v[48:49], v[48:49], -v[44:45]
	v_div_scale_f64 v[56:57], vcc_lo, -v[44:45], v[48:49], -v[44:45]
	s_delay_alu instid0(VALU_DEP_2) | instskip(SKIP_1) | instid1(TRANS32_DEP_1)
	v_rcp_f64_e32 v[50:51], v[46:47]
	v_nop
	v_fma_f64 v[52:53], -v[46:47], v[50:51], 1.0
	s_delay_alu instid0(VALU_DEP_1) | instskip(NEXT) | instid1(VALU_DEP_1)
	v_fmac_f64_e32 v[50:51], v[50:51], v[52:53]
	v_fma_f64 v[52:53], -v[46:47], v[50:51], 1.0
	s_delay_alu instid0(VALU_DEP_1) | instskip(NEXT) | instid1(VALU_DEP_1)
	v_fmac_f64_e32 v[50:51], v[50:51], v[52:53]
	v_mul_f64_e32 v[52:53], v[56:57], v[50:51]
	s_delay_alu instid0(VALU_DEP_1) | instskip(NEXT) | instid1(VALU_DEP_1)
	v_fma_f64 v[46:47], -v[46:47], v[52:53], v[56:57]
	v_div_fmas_f64 v[46:47], v[46:47], v[50:51], v[52:53]
	s_delay_alu instid0(VALU_DEP_1) | instskip(NEXT) | instid1(VALU_DEP_1)
	v_div_fixup_f64 v[44:45], v[46:47], v[48:49], -v[44:45]
	v_fma_f64 v[46:47], v[44:45], v[44:45], 1.0
	s_delay_alu instid0(VALU_DEP_1) | instskip(SKIP_1) | instid1(VALU_DEP_1)
	v_cmp_gt_f64_e32 vcc_lo, 0x10000000, v[46:47]
	v_cndmask_b32_e64 v48, 0, 0x100, vcc_lo
	v_ldexp_f64 v[46:47], v[46:47], v48
	s_delay_alu instid0(VALU_DEP_1) | instskip(SKIP_1) | instid1(TRANS32_DEP_1)
	v_rsq_f64_e32 v[48:49], v[46:47]
	v_nop
	v_mul_f64_e32 v[50:51], v[46:47], v[48:49]
	v_mul_f64_e32 v[48:49], 0.5, v[48:49]
	s_delay_alu instid0(VALU_DEP_1) | instskip(NEXT) | instid1(VALU_DEP_1)
	v_fma_f64 v[52:53], -v[48:49], v[50:51], 0.5
	v_fmac_f64_e32 v[50:51], v[50:51], v[52:53]
	v_fmac_f64_e32 v[48:49], v[48:49], v[52:53]
	s_delay_alu instid0(VALU_DEP_2) | instskip(NEXT) | instid1(VALU_DEP_1)
	v_fma_f64 v[52:53], -v[50:51], v[50:51], v[46:47]
	v_fmac_f64_e32 v[50:51], v[52:53], v[48:49]
	s_delay_alu instid0(VALU_DEP_1) | instskip(NEXT) | instid1(VALU_DEP_1)
	v_fma_f64 v[52:53], -v[50:51], v[50:51], v[46:47]
	v_fmac_f64_e32 v[50:51], v[52:53], v[48:49]
	v_cndmask_b32_e64 v48, 0, 0xffffff80, vcc_lo
	v_cmp_class_f64_e64 vcc_lo, v[46:47], 0x260
	s_delay_alu instid0(VALU_DEP_2) | instskip(NEXT) | instid1(VALU_DEP_1)
	v_ldexp_f64 v[48:49], v[50:51], v48
	v_dual_cndmask_b32 v47, v49, v47 :: v_dual_cndmask_b32 v46, v48, v46
	s_delay_alu instid0(VALU_DEP_1) | instskip(NEXT) | instid1(VALU_DEP_1)
	v_div_scale_f64 v[48:49], null, v[46:47], v[46:47], 1.0
	v_rcp_f64_e32 v[50:51], v[48:49]
	v_nop
	s_delay_alu instid0(TRANS32_DEP_1) | instskip(NEXT) | instid1(VALU_DEP_1)
	v_fma_f64 v[52:53], -v[48:49], v[50:51], 1.0
	v_fmac_f64_e32 v[50:51], v[50:51], v[52:53]
	s_delay_alu instid0(VALU_DEP_1) | instskip(NEXT) | instid1(VALU_DEP_1)
	v_fma_f64 v[52:53], -v[48:49], v[50:51], 1.0
	v_fmac_f64_e32 v[50:51], v[50:51], v[52:53]
	v_div_scale_f64 v[52:53], vcc_lo, 1.0, v[46:47], 1.0
	s_delay_alu instid0(VALU_DEP_1) | instskip(NEXT) | instid1(VALU_DEP_1)
	v_mul_f64_e32 v[56:57], v[52:53], v[50:51]
	v_fma_f64 v[48:49], -v[48:49], v[56:57], v[52:53]
	s_delay_alu instid0(VALU_DEP_1) | instskip(NEXT) | instid1(VALU_DEP_1)
	v_div_fmas_f64 v[48:49], v[48:49], v[50:51], v[56:57]
	v_div_fixup_f64 v[46:47], v[48:49], v[46:47], 1.0
	s_delay_alu instid0(VALU_DEP_1)
	v_mul_f64_e32 v[50:51], v[44:45], v[46:47]
.LBB22_220:                             ;   in Loop: Header=BB22_151 Depth=2
	s_or_b32 exec_lo, exec_lo, s5
	v_cmp_eq_u32_e32 vcc_lo, v37, v54
	s_delay_alu instid0(VALU_DEP_2) | instskip(SKIP_1) | instid1(VALU_DEP_4)
	v_xor_b32_e32 v37, 0x80000000, v47
	v_lshl_add_u64 v[40:41], v[40:41], 3, s[50:51]
	v_dual_cndmask_b32 v45, v47, v51 :: v_dual_add_nc_u32 v36, 2, v36
	s_delay_alu instid0(VALU_DEP_3) | instskip(SKIP_1) | instid1(VALU_DEP_4)
	v_dual_cndmask_b32 v44, v46, v50 :: v_dual_cndmask_b32 v47, v51, v37
	v_cndmask_b32_e32 v46, v50, v46, vcc_lo
	v_lshl_add_u64 v[48:49], s[6:7], 3, v[40:41]
	s_clause 0x1
	global_store_b64 v[40:41], v[46:47], off
	global_store_b64 v[48:49], v[44:45], off offset:-8
	global_store_b128 v[38:39], v[2:5], off
	global_store_b64 v[42:43], v[12:13], off
	ds_store_b32 v60, v36 offset:16
	s_wait_xcnt 0x0
	s_or_b32 exec_lo, exec_lo, s33
                                        ; implicit-def: $vgpr3
.LBB22_221:                             ;   in Loop: Header=BB22_151 Depth=2
	s_and_not1_saveexec_b32 s5, s31
.LBB22_222:                             ;   in Loop: Header=BB22_151 Depth=2
	ds_store_b32 v60, v3 offset:16
.LBB22_223:                             ;   in Loop: Header=BB22_151 Depth=2
	s_or_b32 exec_lo, exec_lo, s5
.LBB22_224:                             ;   in Loop: Header=BB22_151 Depth=2
	s_delay_alu instid0(SALU_CYCLE_1)
	s_or_b32 exec_lo, exec_lo, s10
	s_wait_storecnt_dscnt 0x0
	s_barrier_signal -1
	s_barrier_wait -1
	ds_load_b64 v[2:3], v60 offset:16
	s_wait_dscnt 0x0
	v_readfirstlane_b32 s10, v3
	s_delay_alu instid0(VALU_DEP_1)
	v_cmp_eq_u32_e32 vcc_lo, s10, v2
	v_mov_b32_e32 v36, s10
	s_cbranch_vccnz .LBB22_150
; %bb.225:                              ;   in Loop: Header=BB22_151 Depth=2
	s_and_saveexec_b32 s5, s2
	s_cbranch_execz .LBB22_149
; %bb.226:                              ;   in Loop: Header=BB22_151 Depth=2
	ds_load_b32 v2, v60 offset:28
	s_wait_dscnt 0x0
	v_dual_mov_b32 v40, v6 :: v_dual_ashrrev_i32 v3, 31, v2
	v_readfirstlane_b32 s31, v2
	s_delay_alu instid0(VALU_DEP_2)
	v_lshlrev_b64_e32 v[2:3], 3, v[2:3]
	s_sub_co_i32 s78, s10, s31
	s_mul_i32 s80, s31, s11
	s_ashr_i32 s79, s78, 31
	s_ashr_i32 s81, s80, 31
	s_mul_u64 s[82:83], s[78:79], s[52:53]
	s_lshl_b64 s[80:81], s[80:81], 4
	s_lshl_b64 s[82:83], s[82:83], 4
	s_cmp_gt_i32 s78, 0
	s_mov_b32 s31, 0
	s_cselect_b32 s10, -1, 0
	s_add_co_i32 s76, s78, -1
	s_delay_alu instid0(SALU_CYCLE_1) | instskip(NEXT) | instid1(SALU_CYCLE_1)
	s_lshl_b64 s[84:85], s[76:77], 3
	v_add_nc_u64_e32 v[2:3], s[84:85], v[2:3]
	s_mul_u64 s[84:85], s[68:69], s[76:77]
	s_delay_alu instid0(SALU_CYCLE_1) | instskip(SKIP_3) | instid1(VALU_DEP_2)
	s_add_nc_u64 s[84:85], s[84:85], s[80:81]
	s_add_nc_u64 s[80:81], s[48:49], s[80:81]
	v_add_nc_u64_e32 v[38:39], s[84:85], v[10:11]
	s_add_nc_u64 s[82:83], s[80:81], s[82:83]
	v_add_nc_u64_e32 v[36:37], s[50:51], v[2:3]
	s_branch .LBB22_228
.LBB22_227:                             ;   in Loop: Header=BB22_228 Depth=3
	s_wait_xcnt 0x0
	v_add_nc_u32_e32 v40, s36, v40
	v_add_nc_u64_e32 v[38:39], s[70:71], v[38:39]
	s_wait_loadcnt 0x0
	global_store_b128 v[42:43], v[2:5], off
	v_cmp_le_i32_e32 vcc_lo, s6, v40
	s_or_b32 s31, vcc_lo, s31
	s_wait_xcnt 0x0
	s_and_not1_b32 exec_lo, exec_lo, s31
	s_cbranch_execz .LBB22_149
.LBB22_228:                             ;   Parent Loop BB22_7 Depth=1
                                        ;     Parent Loop BB22_151 Depth=2
                                        ; =>    This Loop Header: Depth=3
                                        ;         Child Loop BB22_229 Depth 4
	global_load_b128 v[2:5], v40, s[82:83] scale_offset
	v_ashrrev_i32_e32 v41, 31, v40
	v_mov_b64_e32 v[44:45], v[38:39]
	v_mov_b64_e32 v[46:47], v[36:37]
	s_and_not1_b32 vcc_lo, exec_lo, s10
	s_mov_b32 s76, s78
	v_lshl_add_u64 v[42:43], v[40:41], 4, s[80:81]
	s_cbranch_vccnz .LBB22_227
.LBB22_229:                             ;   Parent Loop BB22_7 Depth=1
                                        ;     Parent Loop BB22_151 Depth=2
                                        ;       Parent Loop BB22_228 Depth=3
                                        ; =>      This Inner Loop Header: Depth=4
	s_wait_xcnt 0x0
	s_delay_alu instid0(VALU_DEP_2)
	v_add_nc_u64_e32 v[52:53], s[64:65], v[46:47]
	s_wait_loadcnt 0x0
	v_mov_b64_e32 v[56:57], v[4:5]
	v_mov_b64_e32 v[58:59], v[2:3]
	s_mul_u64 s[84:85], s[76:77], s[52:53]
	s_add_co_i32 s76, s76, -1
	global_load_b128 v[48:51], v[44:45], off offset:-8
	s_clause 0x1
	global_load_b64 v[52:53], v[52:53], off
	global_load_b64 v[54:55], v[46:47], off
	s_wait_xcnt 0x0
	v_add_nc_u64_e32 v[46:47], -8, v[46:47]
	v_add_nc_u64_e32 v[44:45], s[72:73], v[44:45]
	s_cmp_eq_u32 s76, 0
	s_wait_loadcnt 0x1
	v_mul_f64_e32 v[64:65], v[52:53], v[50:51]
	s_wait_loadcnt 0x0
	v_mul_f64_e32 v[2:3], v[54:55], v[48:49]
	v_mul_f64_e32 v[48:49], v[52:53], v[48:49]
	;; [unrolled: 1-line block ×3, first 2 shown]
	s_delay_alu instid0(VALU_DEP_4) | instskip(NEXT) | instid1(VALU_DEP_4)
	v_fma_f64 v[50:51], v[56:57], v[54:55], -v[64:65]
	v_fmac_f64_e32 v[2:3], v[58:59], v[52:53]
	s_delay_alu instid0(VALU_DEP_4) | instskip(NEXT) | instid1(VALU_DEP_4)
	v_fma_f64 v[48:49], v[58:59], v[54:55], -v[48:49]
	v_fmac_f64_e32 v[4:5], v[56:57], v[52:53]
	v_lshl_add_u64 v[52:53], s[84:85], 4, v[42:43]
	global_store_b128 v[52:53], v[48:51], off
	s_cbranch_scc0 .LBB22_229
	s_branch .LBB22_227
.LBB22_230:                             ;   in Loop: Header=BB22_151 Depth=2
	s_or_b32 exec_lo, exec_lo, s33
                                        ; implicit-def: $vgpr3
	s_and_not1_saveexec_b32 s5, s31
	s_cbranch_execnz .LBB22_222
	s_branch .LBB22_223
.LBB22_231:
	s_mov_b32 s5, exec_lo
	v_cmpx_gt_i32_e64 s38, v6
	s_cbranch_execz .LBB22_237
; %bb.232:
	v_dual_mov_b32 v4, 0 :: v_dual_ashrrev_i32 v7, 31, v6
	s_lshl_b64 s[2:3], s[42:43], 3
	s_lshl_b64 s[24:25], s[40:41], 2
	s_add_nc_u64 s[2:3], s[20:21], s[2:3]
	s_ashr_i32 s37, s36, 31
	v_lshl_add_u64 v[2:3], v[6:7], 3, s[2:3]
	s_add_nc_u64 s[2:3], s[14:15], s[24:25]
	s_lshl_b64 s[14:15], s[36:37], 3
	s_mov_b32 s7, 0
	s_branch .LBB22_234
.LBB22_233:                             ;   in Loop: Header=BB22_234 Depth=1
	s_wait_xcnt 0x0
	s_or_b32 exec_lo, exec_lo, s10
	v_add_nc_u32_e32 v6, s36, v6
	v_add_nc_u64_e32 v[2:3], s[14:15], v[2:3]
	s_delay_alu instid0(VALU_DEP_2) | instskip(SKIP_1) | instid1(SALU_CYCLE_1)
	v_cmp_le_i32_e32 vcc_lo, s38, v6
	s_or_b32 s7, vcc_lo, s7
	s_and_not1_b32 exec_lo, exec_lo, s7
	s_cbranch_execz .LBB22_237
.LBB22_234:                             ; =>This Inner Loop Header: Depth=1
	global_load_b64 v[8:9], v[2:3], off
	s_mov_b32 s10, exec_lo
	s_wait_loadcnt 0x0
	s_wait_xcnt 0x0
	v_cmpx_neq_f64_e32 0, v[8:9]
	s_cbranch_execz .LBB22_233
; %bb.235:                              ;   in Loop: Header=BB22_234 Depth=1
	s_mov_b32 s20, exec_lo
	s_delay_alu instid0(SALU_CYCLE_1) | instskip(NEXT) | instid1(VALU_DEP_1)
	v_mbcnt_lo_u32_b32 v5, s20, 0
	v_cmp_eq_u32_e32 vcc_lo, 0, v5
	s_and_b32 s21, exec_lo, vcc_lo
	s_delay_alu instid0(SALU_CYCLE_1)
	s_mov_b32 exec_lo, s21
	s_cbranch_execz .LBB22_233
; %bb.236:                              ;   in Loop: Header=BB22_234 Depth=1
	s_bcnt1_i32_b32 s20, s20
	s_delay_alu instid0(SALU_CYCLE_1)
	v_mov_b32_e32 v5, s20
	global_atomic_add_u32 v4, v5, s[2:3] scope:SCOPE_DEV
	s_branch .LBB22_233
.LBB22_237:
	s_or_b32 exec_lo, exec_lo, s5
	s_cmp_lt_i32 s6, 2
	s_cbranch_scc1 .LBB22_250
; %bb.238:
	s_load_b64 s[2:3], s[0:1], 0x4
	v_bfe_u32 v2, v0, 10, 10
	v_bfe_u32 v0, v0, 20, 10
	v_mov_b32_e32 v7, 0
	s_wait_kmcnt 0x0
	s_lshr_b32 s0, s2, 16
	v_mul_u32_u24_e32 v2, s3, v2
	s_mul_i32 s0, s0, s3
	s_lshl_b64 s[2:3], s[22:23], 4
	v_mul_lo_u32 v1, s0, v1
	s_lshl_b64 s[0:1], s[12:13], 4
	s_add_nc_u64 s[12:13], s[16:17], s[34:35]
	s_add_nc_u64 s[2:3], s[0:1], s[2:3]
	;; [unrolled: 1-line block ×4, first 2 shown]
	s_mov_b32 s8, 1
	s_delay_alu instid0(VALU_DEP_1) | instskip(NEXT) | instid1(VALU_DEP_1)
	v_add3_u32 v0, v1, v2, v0
	v_lshl_add_u32 v6, v0, 4, 48
	s_branch .LBB22_240
.LBB22_239:                             ;   in Loop: Header=BB22_240 Depth=1
	s_add_co_i32 s8, s8, 1
	s_add_nc_u64 s[0:1], s[0:1], 8
	s_cmp_lg_u32 s8, s6
	s_wait_storecnt_dscnt 0x0
	s_barrier_signal -1
	s_barrier_wait -1
	s_cbranch_scc0 .LBB22_250
.LBB22_240:                             ; =>This Loop Header: Depth=1
                                        ;     Child Loop BB22_243 Depth 2
                                        ;     Child Loop BB22_249 Depth 2
	s_and_saveexec_b32 s5, s4
	s_cbranch_execz .LBB22_247
; %bb.241:                              ;   in Loop: Header=BB22_240 Depth=1
	s_add_co_i32 s7, s8, -1
	s_delay_alu instid0(SALU_CYCLE_1)
	v_dual_mov_b32 v0, s8 :: v_dual_mov_b32 v4, s7
	s_ashr_i32 s9, s8, 31
	v_mov_b32_e32 v5, s7
	s_lshl_b64 s[12:13], s[8:9], 3
	global_load_b64 v[0:1], v0, s[18:19] offset:-8 scale_offset
	s_add_nc_u64 s[12:13], s[18:19], s[12:13]
	s_mov_b64 s[14:15], s[0:1]
	s_mov_b32 s10, s7
	s_mov_b32 s9, s8
	s_wait_loadcnt 0x0
	v_mov_b64_e32 v[2:3], v[0:1]
	ds_store_2addr_b64 v7, v[0:1], v[4:5] offset1:2
	s_branch .LBB22_243
.LBB22_242:                             ;   in Loop: Header=BB22_243 Depth=2
	s_add_co_i32 s9, s9, 1
	s_wait_xcnt 0x0
	s_add_nc_u64 s[14:15], s[14:15], 8
	s_cmp_eq_u32 s6, s9
	s_cbranch_scc1 .LBB22_245
.LBB22_243:                             ;   Parent Loop BB22_240 Depth=1
                                        ; =>  This Inner Loop Header: Depth=2
	global_load_b64 v[4:5], v7, s[14:15]
	s_wait_loadcnt 0x0
	v_cmp_nlt_f64_e32 vcc_lo, v[4:5], v[2:3]
	s_cbranch_vccnz .LBB22_242
; %bb.244:                              ;   in Loop: Header=BB22_243 Depth=2
	v_mov_b64_e32 v[2:3], v[4:5]
	v_mov_b32_e32 v8, s9
	s_mov_b32 s10, s9
	ds_store_b32 v7, v8 offset:20
	ds_store_b64 v7, v[4:5]
	s_branch .LBB22_242
.LBB22_245:                             ;   in Loop: Header=BB22_240 Depth=1
	s_cmp_lg_u32 s10, s7
	s_cbranch_scc0 .LBB22_247
; %bb.246:                              ;   in Loop: Header=BB22_240 Depth=1
	v_mov_b32_e32 v4, s10
	s_clause 0x1
	global_store_b64 v4, v[0:1], s[18:19] scale_offset
	global_store_b64 v7, v[2:3], s[12:13] offset:-8
.LBB22_247:                             ;   in Loop: Header=BB22_240 Depth=1
	s_wait_xcnt 0x0
	s_or_b32 exec_lo, exec_lo, s5
	s_wait_storecnt_dscnt 0x0
	s_barrier_signal -1
	s_barrier_wait -1
	ds_load_b64 v[0:1], v7 offset:16
	s_wait_dscnt 0x0
	v_readfirstlane_b32 s5, v0
	v_readfirstlane_b32 s7, v1
	s_cmp_eq_u32 s7, s5
	s_cbranch_scc1 .LBB22_239
; %bb.248:                              ;   in Loop: Header=BB22_240 Depth=1
	s_mul_i32 s12, s7, s11
	s_mul_i32 s14, s5, s11
	s_ashr_i32 s13, s12, 31
	s_ashr_i32 s15, s14, 31
	s_lshl_b64 s[12:13], s[12:13], 4
	s_lshl_b64 s[14:15], s[14:15], 4
	s_add_nc_u64 s[12:13], s[2:3], s[12:13]
	s_add_nc_u64 s[14:15], s[2:3], s[14:15]
	s_mov_b32 s5, s6
.LBB22_249:                             ;   Parent Loop BB22_240 Depth=1
                                        ; =>  This Inner Loop Header: Depth=2
	s_clause 0x1
	global_load_b128 v[0:3], v7, s[12:13]
	global_load_b128 v[8:11], v7, s[14:15]
	s_add_co_i32 s5, s5, -1
	s_wait_loadcnt 0x1
	global_store_b128 v7, v[0:3], s[14:15]
	s_wait_loadcnt 0x0
	global_store_b128 v7, v[8:11], s[12:13]
	s_cmp_lg_u32 s5, 0
	s_wait_xcnt 0x0
	s_add_nc_u64 s[12:13], s[12:13], 16
	s_add_nc_u64 s[14:15], s[14:15], 16
	ds_store_2addr_b64 v6, v[8:9], v[10:11] offset1:1
	s_cbranch_scc1 .LBB22_249
	s_branch .LBB22_239
.LBB22_250:
	s_sendmsg sendmsg(MSG_DEALLOC_VGPRS)
	s_endpgm
	.section	.rodata,"a",@progbits
	.p2align	6, 0x0
	.amdhsa_kernel _ZN9rocsolver6v33100L12steqr_kernelI19rocblas_complex_numIdEdPS3_EEviPT0_lS6_lT1_iilPiS6_iS5_S5_S5_
		.amdhsa_group_segment_fixed_size 16432
		.amdhsa_private_segment_fixed_size 0
		.amdhsa_kernarg_size 368
		.amdhsa_user_sgpr_count 4
		.amdhsa_user_sgpr_dispatch_ptr 1
		.amdhsa_user_sgpr_queue_ptr 0
		.amdhsa_user_sgpr_kernarg_segment_ptr 1
		.amdhsa_user_sgpr_dispatch_id 0
		.amdhsa_user_sgpr_kernarg_preload_length 0
		.amdhsa_user_sgpr_kernarg_preload_offset 0
		.amdhsa_user_sgpr_private_segment_size 0
		.amdhsa_wavefront_size32 1
		.amdhsa_uses_dynamic_stack 0
		.amdhsa_enable_private_segment 0
		.amdhsa_system_sgpr_workgroup_id_x 1
		.amdhsa_system_sgpr_workgroup_id_y 1
		.amdhsa_system_sgpr_workgroup_id_z 0
		.amdhsa_system_sgpr_workgroup_info 0
		.amdhsa_system_vgpr_workitem_id 2
		.amdhsa_next_free_vgpr 74
		.amdhsa_next_free_sgpr 90
		.amdhsa_named_barrier_count 0
		.amdhsa_reserve_vcc 1
		.amdhsa_float_round_mode_32 0
		.amdhsa_float_round_mode_16_64 0
		.amdhsa_float_denorm_mode_32 3
		.amdhsa_float_denorm_mode_16_64 3
		.amdhsa_fp16_overflow 0
		.amdhsa_memory_ordered 1
		.amdhsa_forward_progress 1
		.amdhsa_inst_pref_size 120
		.amdhsa_round_robin_scheduling 0
		.amdhsa_exception_fp_ieee_invalid_op 0
		.amdhsa_exception_fp_denorm_src 0
		.amdhsa_exception_fp_ieee_div_zero 0
		.amdhsa_exception_fp_ieee_overflow 0
		.amdhsa_exception_fp_ieee_underflow 0
		.amdhsa_exception_fp_ieee_inexact 0
		.amdhsa_exception_int_div_zero 0
	.end_amdhsa_kernel
	.section	.text._ZN9rocsolver6v33100L12steqr_kernelI19rocblas_complex_numIdEdPS3_EEviPT0_lS6_lT1_iilPiS6_iS5_S5_S5_,"axG",@progbits,_ZN9rocsolver6v33100L12steqr_kernelI19rocblas_complex_numIdEdPS3_EEviPT0_lS6_lT1_iilPiS6_iS5_S5_S5_,comdat
.Lfunc_end22:
	.size	_ZN9rocsolver6v33100L12steqr_kernelI19rocblas_complex_numIdEdPS3_EEviPT0_lS6_lT1_iilPiS6_iS5_S5_S5_, .Lfunc_end22-_ZN9rocsolver6v33100L12steqr_kernelI19rocblas_complex_numIdEdPS3_EEviPT0_lS6_lT1_iilPiS6_iS5_S5_S5_
                                        ; -- End function
	.set _ZN9rocsolver6v33100L12steqr_kernelI19rocblas_complex_numIdEdPS3_EEviPT0_lS6_lT1_iilPiS6_iS5_S5_S5_.num_vgpr, 74
	.set _ZN9rocsolver6v33100L12steqr_kernelI19rocblas_complex_numIdEdPS3_EEviPT0_lS6_lT1_iilPiS6_iS5_S5_S5_.num_agpr, 0
	.set _ZN9rocsolver6v33100L12steqr_kernelI19rocblas_complex_numIdEdPS3_EEviPT0_lS6_lT1_iilPiS6_iS5_S5_S5_.numbered_sgpr, 90
	.set _ZN9rocsolver6v33100L12steqr_kernelI19rocblas_complex_numIdEdPS3_EEviPT0_lS6_lT1_iilPiS6_iS5_S5_S5_.num_named_barrier, 0
	.set _ZN9rocsolver6v33100L12steqr_kernelI19rocblas_complex_numIdEdPS3_EEviPT0_lS6_lT1_iilPiS6_iS5_S5_S5_.private_seg_size, 0
	.set _ZN9rocsolver6v33100L12steqr_kernelI19rocblas_complex_numIdEdPS3_EEviPT0_lS6_lT1_iilPiS6_iS5_S5_S5_.uses_vcc, 1
	.set _ZN9rocsolver6v33100L12steqr_kernelI19rocblas_complex_numIdEdPS3_EEviPT0_lS6_lT1_iilPiS6_iS5_S5_S5_.uses_flat_scratch, 0
	.set _ZN9rocsolver6v33100L12steqr_kernelI19rocblas_complex_numIdEdPS3_EEviPT0_lS6_lT1_iilPiS6_iS5_S5_S5_.has_dyn_sized_stack, 0
	.set _ZN9rocsolver6v33100L12steqr_kernelI19rocblas_complex_numIdEdPS3_EEviPT0_lS6_lT1_iilPiS6_iS5_S5_S5_.has_recursion, 0
	.set _ZN9rocsolver6v33100L12steqr_kernelI19rocblas_complex_numIdEdPS3_EEviPT0_lS6_lT1_iilPiS6_iS5_S5_S5_.has_indirect_call, 0
	.section	.AMDGPU.csdata,"",@progbits
; Kernel info:
; codeLenInByte = 15340
; TotalNumSgprs: 92
; NumVgprs: 74
; ScratchSize: 0
; MemoryBound: 0
; FloatMode: 240
; IeeeMode: 1
; LDSByteSize: 16432 bytes/workgroup (compile time only)
; SGPRBlocks: 0
; VGPRBlocks: 4
; NumSGPRsForWavesPerEU: 92
; NumVGPRsForWavesPerEU: 74
; NamedBarCnt: 0
; Occupancy: 12
; WaveLimiterHint : 0
; COMPUTE_PGM_RSRC2:SCRATCH_EN: 0
; COMPUTE_PGM_RSRC2:USER_SGPR: 4
; COMPUTE_PGM_RSRC2:TRAP_HANDLER: 0
; COMPUTE_PGM_RSRC2:TGID_X_EN: 1
; COMPUTE_PGM_RSRC2:TGID_Y_EN: 1
; COMPUTE_PGM_RSRC2:TGID_Z_EN: 0
; COMPUTE_PGM_RSRC2:TIDIG_COMP_CNT: 2
	.section	.AMDGPU.gpr_maximums,"",@progbits
	.set amdgpu.max_num_vgpr, 0
	.set amdgpu.max_num_agpr, 0
	.set amdgpu.max_num_sgpr, 0
	.section	.AMDGPU.csdata,"",@progbits
	.type	__hip_cuid_ef29dc45f7e354ed,@object ; @__hip_cuid_ef29dc45f7e354ed
	.section	.bss,"aw",@nobits
	.globl	__hip_cuid_ef29dc45f7e354ed
__hip_cuid_ef29dc45f7e354ed:
	.byte	0                               ; 0x0
	.size	__hip_cuid_ef29dc45f7e354ed, 1

	.ident	"AMD clang version 22.0.0git (https://github.com/RadeonOpenCompute/llvm-project roc-7.2.4 26084 f58b06dce1f9c15707c5f808fd002e18c2accf7e)"
	.section	".note.GNU-stack","",@progbits
	.addrsig
	.addrsig_sym __hip_cuid_ef29dc45f7e354ed
	.amdgpu_metadata
---
amdhsa.kernels:
  - .args:
      - .address_space:  global
        .offset:         0
        .size:           8
        .value_kind:     global_buffer
      - .offset:         8
        .size:           4
        .value_kind:     by_value
      - .offset:         12
        .size:           4
        .value_kind:     by_value
      - .offset:         16
        .size:           4
        .value_kind:     by_value
      - .offset:         24
        .size:           4
        .value_kind:     hidden_block_count_x
      - .offset:         28
        .size:           4
        .value_kind:     hidden_block_count_y
      - .offset:         32
        .size:           4
        .value_kind:     hidden_block_count_z
      - .offset:         36
        .size:           2
        .value_kind:     hidden_group_size_x
      - .offset:         38
        .size:           2
        .value_kind:     hidden_group_size_y
      - .offset:         40
        .size:           2
        .value_kind:     hidden_group_size_z
      - .offset:         42
        .size:           2
        .value_kind:     hidden_remainder_x
      - .offset:         44
        .size:           2
        .value_kind:     hidden_remainder_y
      - .offset:         46
        .size:           2
        .value_kind:     hidden_remainder_z
      - .offset:         64
        .size:           8
        .value_kind:     hidden_global_offset_x
      - .offset:         72
        .size:           8
        .value_kind:     hidden_global_offset_y
      - .offset:         80
        .size:           8
        .value_kind:     hidden_global_offset_z
      - .offset:         88
        .size:           2
        .value_kind:     hidden_grid_dims
    .group_segment_fixed_size: 0
    .kernarg_segment_align: 8
    .kernarg_segment_size: 280
    .language:       OpenCL C
    .language_version:
      - 2
      - 0
    .max_flat_workgroup_size: 1024
    .name:           _ZN9rocsolver6v33100L10reset_infoIiiiEEvPT_T0_T1_S4_
    .private_segment_fixed_size: 0
    .sgpr_count:     9
    .sgpr_spill_count: 0
    .symbol:         _ZN9rocsolver6v33100L10reset_infoIiiiEEvPT_T0_T1_S4_.kd
    .uniform_work_group_size: 1
    .uses_dynamic_stack: false
    .vgpr_count:     2
    .vgpr_spill_count: 0
    .wavefront_size: 32
  - .args:
      - .address_space:  global
        .offset:         0
        .size:           8
        .value_kind:     global_buffer
      - .offset:         8
        .size:           8
        .value_kind:     by_value
      - .offset:         16
        .size:           4
        .value_kind:     by_value
      - .offset:         20
        .size:           4
        .value_kind:     by_value
      - .offset:         24
        .size:           4
        .value_kind:     hidden_block_count_x
      - .offset:         28
        .size:           4
        .value_kind:     hidden_block_count_y
      - .offset:         32
        .size:           4
        .value_kind:     hidden_block_count_z
      - .offset:         36
        .size:           2
        .value_kind:     hidden_group_size_x
      - .offset:         38
        .size:           2
        .value_kind:     hidden_group_size_y
      - .offset:         40
        .size:           2
        .value_kind:     hidden_group_size_z
      - .offset:         42
        .size:           2
        .value_kind:     hidden_remainder_x
      - .offset:         44
        .size:           2
        .value_kind:     hidden_remainder_y
      - .offset:         46
        .size:           2
        .value_kind:     hidden_remainder_z
      - .offset:         64
        .size:           8
        .value_kind:     hidden_global_offset_x
      - .offset:         72
        .size:           8
        .value_kind:     hidden_global_offset_y
      - .offset:         80
        .size:           8
        .value_kind:     hidden_global_offset_z
      - .offset:         88
        .size:           2
        .value_kind:     hidden_grid_dims
    .group_segment_fixed_size: 0
    .kernarg_segment_align: 8
    .kernarg_segment_size: 280
    .language:       OpenCL C
    .language_version:
      - 2
      - 0
    .max_flat_workgroup_size: 1024
    .name:           _ZN9rocsolver6v33100L16reset_batch_infoIfiiPfEEvT2_lT0_T1_
    .private_segment_fixed_size: 0
    .sgpr_count:     14
    .sgpr_spill_count: 0
    .symbol:         _ZN9rocsolver6v33100L16reset_batch_infoIfiiPfEEvT2_lT0_T1_.kd
    .uniform_work_group_size: 1
    .uses_dynamic_stack: false
    .vgpr_count:     2
    .vgpr_spill_count: 0
    .wavefront_size: 32
  - .args:
      - .offset:         0
        .size:           4
        .value_kind:     by_value
      - .offset:         4
        .size:           4
        .value_kind:     by_value
      - .address_space:  global
        .offset:         8
        .size:           8
        .value_kind:     global_buffer
      - .offset:         16
        .size:           4
        .value_kind:     by_value
      - .offset:         20
        .size:           4
        .value_kind:     by_value
      - .offset:         24
        .size:           8
        .value_kind:     by_value
      - .offset:         32
        .size:           4
        .value_kind:     hidden_block_count_x
      - .offset:         36
        .size:           4
        .value_kind:     hidden_block_count_y
      - .offset:         40
        .size:           4
        .value_kind:     hidden_block_count_z
      - .offset:         44
        .size:           2
        .value_kind:     hidden_group_size_x
      - .offset:         46
        .size:           2
        .value_kind:     hidden_group_size_y
      - .offset:         48
        .size:           2
        .value_kind:     hidden_group_size_z
      - .offset:         50
        .size:           2
        .value_kind:     hidden_remainder_x
      - .offset:         52
        .size:           2
        .value_kind:     hidden_remainder_y
      - .offset:         54
        .size:           2
        .value_kind:     hidden_remainder_z
      - .offset:         72
        .size:           8
        .value_kind:     hidden_global_offset_x
      - .offset:         80
        .size:           8
        .value_kind:     hidden_global_offset_y
      - .offset:         88
        .size:           8
        .value_kind:     hidden_global_offset_z
      - .offset:         96
        .size:           2
        .value_kind:     hidden_grid_dims
    .group_segment_fixed_size: 0
    .kernarg_segment_align: 8
    .kernarg_segment_size: 288
    .language:       OpenCL C
    .language_version:
      - 2
      - 0
    .max_flat_workgroup_size: 1024
    .name:           _ZN9rocsolver6v33100L10init_identIfPfEEviiT0_iil
    .private_segment_fixed_size: 0
    .sgpr_count:     13
    .sgpr_spill_count: 0
    .symbol:         _ZN9rocsolver6v33100L10init_identIfPfEEviiT0_iil.kd
    .uniform_work_group_size: 1
    .uses_dynamic_stack: false
    .vgpr_count:     3
    .vgpr_spill_count: 0
    .wavefront_size: 32
  - .args:
      - .offset:         0
        .size:           4
        .value_kind:     by_value
      - .address_space:  global
        .offset:         8
        .size:           8
        .value_kind:     global_buffer
      - .offset:         16
        .size:           8
        .value_kind:     by_value
      - .address_space:  global
        .offset:         24
        .size:           8
        .value_kind:     global_buffer
      - .offset:         32
        .size:           8
        .value_kind:     by_value
      - .address_space:  global
        .offset:         40
        .size:           8
        .value_kind:     global_buffer
      - .address_space:  global
        .offset:         48
        .size:           8
        .value_kind:     global_buffer
      - .offset:         56
        .size:           4
        .value_kind:     by_value
      - .offset:         60
        .size:           4
        .value_kind:     by_value
      - .offset:         64
        .size:           4
        .value_kind:     by_value
      - .offset:         68
        .size:           4
        .value_kind:     by_value
    .group_segment_fixed_size: 0
    .kernarg_segment_align: 8
    .kernarg_segment_size: 72
    .language:       OpenCL C
    .language_version:
      - 2
      - 0
    .max_flat_workgroup_size: 1024
    .name:           _ZN9rocsolver6v33100L12sterf_kernelIfEEviPT_lS3_lPiS4_iS2_S2_S2_
    .private_segment_fixed_size: 0
    .sgpr_count:     62
    .sgpr_spill_count: 0
    .symbol:         _ZN9rocsolver6v33100L12sterf_kernelIfEEviPT_lS3_lPiS4_iS2_S2_S2_.kd
    .uniform_work_group_size: 1
    .uses_dynamic_stack: false
    .vgpr_count:     30
    .vgpr_spill_count: 0
    .wavefront_size: 32
  - .args:
      - .offset:         0
        .size:           4
        .value_kind:     by_value
      - .offset:         4
        .size:           4
        .value_kind:     by_value
      - .offset:         8
        .size:           4
        .value_kind:     by_value
      - .offset:         12
        .size:           4
        .value_kind:     by_value
      - .offset:         16
        .size:           4
        .value_kind:     by_value
      - .address_space:  global
        .offset:         24
        .size:           8
        .value_kind:     global_buffer
      - .offset:         32
        .size:           8
        .value_kind:     by_value
      - .address_space:  global
        .offset:         40
        .size:           8
        .value_kind:     global_buffer
      - .offset:         48
        .size:           8
        .value_kind:     by_value
      - .address_space:  global
        .offset:         56
        .size:           8
        .value_kind:     global_buffer
      - .offset:         64
        .size:           8
        .value_kind:     by_value
      - .offset:         72
        .size:           4
        .value_kind:     by_value
      - .offset:         80
        .size:           8
        .value_kind:     by_value
      - .offset:         88
        .size:           4
        .value_kind:     by_value
      - .offset:         96
        .size:           4
        .value_kind:     hidden_block_count_x
      - .offset:         100
        .size:           4
        .value_kind:     hidden_block_count_y
      - .offset:         104
        .size:           4
        .value_kind:     hidden_block_count_z
      - .offset:         108
        .size:           2
        .value_kind:     hidden_group_size_x
      - .offset:         110
        .size:           2
        .value_kind:     hidden_group_size_y
      - .offset:         112
        .size:           2
        .value_kind:     hidden_group_size_z
      - .offset:         114
        .size:           2
        .value_kind:     hidden_remainder_x
      - .offset:         116
        .size:           2
        .value_kind:     hidden_remainder_y
      - .offset:         118
        .size:           2
        .value_kind:     hidden_remainder_z
      - .offset:         136
        .size:           8
        .value_kind:     hidden_global_offset_x
      - .offset:         144
        .size:           8
        .value_kind:     hidden_global_offset_y
      - .offset:         152
        .size:           8
        .value_kind:     hidden_global_offset_z
      - .offset:         160
        .size:           2
        .value_kind:     hidden_grid_dims
    .group_segment_fixed_size: 0
    .kernarg_segment_align: 8
    .kernarg_segment_size: 352
    .language:       OpenCL C
    .language_version:
      - 2
      - 0
    .max_flat_workgroup_size: 64
    .name:           _ZN9rocsolver6v33100L11lasr_kernelIffPfiEEv13rocblas_side_14rocblas_pivot_15rocblas_direct_T2_S6_PT0_lS8_lT1_lS6_lS6_
    .private_segment_fixed_size: 0
    .sgpr_count:     93
    .sgpr_spill_count: 0
    .symbol:         _ZN9rocsolver6v33100L11lasr_kernelIffPfiEEv13rocblas_side_14rocblas_pivot_15rocblas_direct_T2_S6_PT0_lS8_lT1_lS6_lS6_.kd
    .uniform_work_group_size: 1
    .uses_dynamic_stack: false
    .vgpr_count:     42
    .vgpr_spill_count: 0
    .wavefront_size: 32
  - .args:
      - .offset:         0
        .size:           4
        .value_kind:     by_value
      - .address_space:  global
        .offset:         8
        .size:           8
        .value_kind:     global_buffer
      - .offset:         16
        .size:           4
        .value_kind:     by_value
      - .address_space:  global
        .offset:         24
        .size:           8
        .value_kind:     global_buffer
      - .offset:         32
        .size:           4
        .value_kind:     by_value
      - .offset:         40
        .size:           4
        .value_kind:     hidden_block_count_x
      - .offset:         44
        .size:           4
        .value_kind:     hidden_block_count_y
      - .offset:         48
        .size:           4
        .value_kind:     hidden_block_count_z
      - .offset:         52
        .size:           2
        .value_kind:     hidden_group_size_x
      - .offset:         54
        .size:           2
        .value_kind:     hidden_group_size_y
      - .offset:         56
        .size:           2
        .value_kind:     hidden_group_size_z
      - .offset:         58
        .size:           2
        .value_kind:     hidden_remainder_x
      - .offset:         60
        .size:           2
        .value_kind:     hidden_remainder_y
      - .offset:         62
        .size:           2
        .value_kind:     hidden_remainder_z
      - .offset:         80
        .size:           8
        .value_kind:     hidden_global_offset_x
      - .offset:         88
        .size:           8
        .value_kind:     hidden_global_offset_y
      - .offset:         96
        .size:           8
        .value_kind:     hidden_global_offset_z
      - .offset:         104
        .size:           2
        .value_kind:     hidden_grid_dims
    .group_segment_fixed_size: 0
    .kernarg_segment_align: 8
    .kernarg_segment_size: 296
    .language:       OpenCL C
    .language_version:
      - 2
      - 0
    .max_flat_workgroup_size: 1024
    .name:           _ZN9rocsolver6v33100L11swap_kernelIfiEEvT0_PT_S2_S4_S2_
    .private_segment_fixed_size: 0
    .sgpr_count:     18
    .sgpr_spill_count: 0
    .symbol:         _ZN9rocsolver6v33100L11swap_kernelIfiEEvT0_PT_S2_S4_S2_.kd
    .uniform_work_group_size: 1
    .uses_dynamic_stack: false
    .vgpr_count:     9
    .vgpr_spill_count: 0
    .wavefront_size: 32
  - .args:
      - .offset:         0
        .size:           4
        .value_kind:     by_value
      - .address_space:  global
        .offset:         8
        .size:           8
        .value_kind:     global_buffer
      - .offset:         16
        .size:           8
        .value_kind:     by_value
      - .address_space:  global
        .offset:         24
        .size:           8
        .value_kind:     global_buffer
      - .offset:         32
        .size:           8
        .value_kind:     by_value
      - .address_space:  global
        .offset:         40
        .size:           8
        .value_kind:     global_buffer
      - .offset:         48
        .size:           4
        .value_kind:     by_value
      - .offset:         52
        .size:           4
        .value_kind:     by_value
      - .offset:         56
        .size:           8
        .value_kind:     by_value
      - .address_space:  global
        .offset:         64
        .size:           8
        .value_kind:     global_buffer
      - .address_space:  global
        .offset:         72
        .size:           8
        .value_kind:     global_buffer
      - .offset:         80
        .size:           4
        .value_kind:     by_value
      - .offset:         84
        .size:           4
        .value_kind:     by_value
      - .offset:         88
        .size:           4
        .value_kind:     by_value
      - .offset:         92
        .size:           4
        .value_kind:     by_value
      - .offset:         96
        .size:           4
        .value_kind:     hidden_block_count_x
      - .offset:         100
        .size:           4
        .value_kind:     hidden_block_count_y
      - .offset:         104
        .size:           4
        .value_kind:     hidden_block_count_z
      - .offset:         108
        .size:           2
        .value_kind:     hidden_group_size_x
      - .offset:         110
        .size:           2
        .value_kind:     hidden_group_size_y
      - .offset:         112
        .size:           2
        .value_kind:     hidden_group_size_z
      - .offset:         114
        .size:           2
        .value_kind:     hidden_remainder_x
      - .offset:         116
        .size:           2
        .value_kind:     hidden_remainder_y
      - .offset:         118
        .size:           2
        .value_kind:     hidden_remainder_z
      - .offset:         136
        .size:           8
        .value_kind:     hidden_global_offset_x
      - .offset:         144
        .size:           8
        .value_kind:     hidden_global_offset_y
      - .offset:         152
        .size:           8
        .value_kind:     hidden_global_offset_z
      - .offset:         160
        .size:           2
        .value_kind:     hidden_grid_dims
    .group_segment_fixed_size: 36
    .kernarg_segment_align: 8
    .kernarg_segment_size: 352
    .language:       OpenCL C
    .language_version:
      - 2
      - 0
    .max_flat_workgroup_size: 1024
    .name:           _ZN9rocsolver6v33100L12steqr_kernelIffPfEEviPT0_lS4_lT1_iilPiS4_iS3_S3_S3_
    .private_segment_fixed_size: 0
    .sgpr_count:     84
    .sgpr_spill_count: 0
    .symbol:         _ZN9rocsolver6v33100L12steqr_kernelIffPfEEviPT0_lS4_lT1_iilPiS4_iS3_S3_S3_.kd
    .uniform_work_group_size: 1
    .uses_dynamic_stack: false
    .vgpr_count:     62
    .vgpr_spill_count: 0
    .wavefront_size: 32
  - .args:
      - .address_space:  global
        .offset:         0
        .size:           8
        .value_kind:     global_buffer
      - .offset:         8
        .size:           8
        .value_kind:     by_value
      - .offset:         16
        .size:           4
        .value_kind:     by_value
      - .offset:         20
        .size:           4
        .value_kind:     by_value
      - .offset:         24
        .size:           4
        .value_kind:     hidden_block_count_x
      - .offset:         28
        .size:           4
        .value_kind:     hidden_block_count_y
      - .offset:         32
        .size:           4
        .value_kind:     hidden_block_count_z
      - .offset:         36
        .size:           2
        .value_kind:     hidden_group_size_x
      - .offset:         38
        .size:           2
        .value_kind:     hidden_group_size_y
      - .offset:         40
        .size:           2
        .value_kind:     hidden_group_size_z
      - .offset:         42
        .size:           2
        .value_kind:     hidden_remainder_x
      - .offset:         44
        .size:           2
        .value_kind:     hidden_remainder_y
      - .offset:         46
        .size:           2
        .value_kind:     hidden_remainder_z
      - .offset:         64
        .size:           8
        .value_kind:     hidden_global_offset_x
      - .offset:         72
        .size:           8
        .value_kind:     hidden_global_offset_y
      - .offset:         80
        .size:           8
        .value_kind:     hidden_global_offset_z
      - .offset:         88
        .size:           2
        .value_kind:     hidden_grid_dims
    .group_segment_fixed_size: 0
    .kernarg_segment_align: 8
    .kernarg_segment_size: 280
    .language:       OpenCL C
    .language_version:
      - 2
      - 0
    .max_flat_workgroup_size: 1024
    .name:           _ZN9rocsolver6v33100L16reset_batch_infoIdiiPdEEvT2_lT0_T1_
    .private_segment_fixed_size: 0
    .sgpr_count:     10
    .sgpr_spill_count: 0
    .symbol:         _ZN9rocsolver6v33100L16reset_batch_infoIdiiPdEEvT2_lT0_T1_.kd
    .uniform_work_group_size: 1
    .uses_dynamic_stack: false
    .vgpr_count:     4
    .vgpr_spill_count: 0
    .wavefront_size: 32
  - .args:
      - .offset:         0
        .size:           4
        .value_kind:     by_value
      - .offset:         4
        .size:           4
        .value_kind:     by_value
      - .address_space:  global
        .offset:         8
        .size:           8
        .value_kind:     global_buffer
      - .offset:         16
        .size:           4
        .value_kind:     by_value
      - .offset:         20
        .size:           4
        .value_kind:     by_value
      - .offset:         24
        .size:           8
        .value_kind:     by_value
      - .offset:         32
        .size:           4
        .value_kind:     hidden_block_count_x
      - .offset:         36
        .size:           4
        .value_kind:     hidden_block_count_y
      - .offset:         40
        .size:           4
        .value_kind:     hidden_block_count_z
      - .offset:         44
        .size:           2
        .value_kind:     hidden_group_size_x
      - .offset:         46
        .size:           2
        .value_kind:     hidden_group_size_y
      - .offset:         48
        .size:           2
        .value_kind:     hidden_group_size_z
      - .offset:         50
        .size:           2
        .value_kind:     hidden_remainder_x
      - .offset:         52
        .size:           2
        .value_kind:     hidden_remainder_y
      - .offset:         54
        .size:           2
        .value_kind:     hidden_remainder_z
      - .offset:         72
        .size:           8
        .value_kind:     hidden_global_offset_x
      - .offset:         80
        .size:           8
        .value_kind:     hidden_global_offset_y
      - .offset:         88
        .size:           8
        .value_kind:     hidden_global_offset_z
      - .offset:         96
        .size:           2
        .value_kind:     hidden_grid_dims
    .group_segment_fixed_size: 0
    .kernarg_segment_align: 8
    .kernarg_segment_size: 288
    .language:       OpenCL C
    .language_version:
      - 2
      - 0
    .max_flat_workgroup_size: 1024
    .name:           _ZN9rocsolver6v33100L10init_identIdPdEEviiT0_iil
    .private_segment_fixed_size: 0
    .sgpr_count:     13
    .sgpr_spill_count: 0
    .symbol:         _ZN9rocsolver6v33100L10init_identIdPdEEviiT0_iil.kd
    .uniform_work_group_size: 1
    .uses_dynamic_stack: false
    .vgpr_count:     4
    .vgpr_spill_count: 0
    .wavefront_size: 32
  - .args:
      - .offset:         0
        .size:           4
        .value_kind:     by_value
      - .address_space:  global
        .offset:         8
        .size:           8
        .value_kind:     global_buffer
      - .offset:         16
        .size:           8
        .value_kind:     by_value
      - .address_space:  global
        .offset:         24
        .size:           8
        .value_kind:     global_buffer
      - .offset:         32
        .size:           8
        .value_kind:     by_value
      - .address_space:  global
        .offset:         40
        .size:           8
        .value_kind:     global_buffer
      - .address_space:  global
        .offset:         48
        .size:           8
        .value_kind:     global_buffer
      - .offset:         56
        .size:           4
        .value_kind:     by_value
      - .offset:         64
        .size:           8
        .value_kind:     by_value
      - .offset:         72
        .size:           8
        .value_kind:     by_value
      - .offset:         80
        .size:           8
        .value_kind:     by_value
    .group_segment_fixed_size: 0
    .kernarg_segment_align: 8
    .kernarg_segment_size: 88
    .language:       OpenCL C
    .language_version:
      - 2
      - 0
    .max_flat_workgroup_size: 1024
    .name:           _ZN9rocsolver6v33100L12sterf_kernelIdEEviPT_lS3_lPiS4_iS2_S2_S2_
    .private_segment_fixed_size: 0
    .sgpr_count:     62
    .sgpr_spill_count: 0
    .symbol:         _ZN9rocsolver6v33100L12sterf_kernelIdEEviPT_lS3_lPiS4_iS2_S2_S2_.kd
    .uniform_work_group_size: 1
    .uses_dynamic_stack: false
    .vgpr_count:     40
    .vgpr_spill_count: 0
    .wavefront_size: 32
  - .args:
      - .offset:         0
        .size:           4
        .value_kind:     by_value
      - .offset:         4
        .size:           4
        .value_kind:     by_value
      - .offset:         8
        .size:           4
        .value_kind:     by_value
      - .offset:         12
        .size:           4
        .value_kind:     by_value
      - .offset:         16
        .size:           4
        .value_kind:     by_value
      - .address_space:  global
        .offset:         24
        .size:           8
        .value_kind:     global_buffer
      - .offset:         32
        .size:           8
        .value_kind:     by_value
      - .address_space:  global
        .offset:         40
        .size:           8
        .value_kind:     global_buffer
      - .offset:         48
        .size:           8
        .value_kind:     by_value
      - .address_space:  global
        .offset:         56
        .size:           8
        .value_kind:     global_buffer
      - .offset:         64
        .size:           8
        .value_kind:     by_value
      - .offset:         72
        .size:           4
        .value_kind:     by_value
      - .offset:         80
        .size:           8
        .value_kind:     by_value
      - .offset:         88
        .size:           4
        .value_kind:     by_value
      - .offset:         96
        .size:           4
        .value_kind:     hidden_block_count_x
      - .offset:         100
        .size:           4
        .value_kind:     hidden_block_count_y
      - .offset:         104
        .size:           4
        .value_kind:     hidden_block_count_z
      - .offset:         108
        .size:           2
        .value_kind:     hidden_group_size_x
      - .offset:         110
        .size:           2
        .value_kind:     hidden_group_size_y
      - .offset:         112
        .size:           2
        .value_kind:     hidden_group_size_z
      - .offset:         114
        .size:           2
        .value_kind:     hidden_remainder_x
      - .offset:         116
        .size:           2
        .value_kind:     hidden_remainder_y
      - .offset:         118
        .size:           2
        .value_kind:     hidden_remainder_z
      - .offset:         136
        .size:           8
        .value_kind:     hidden_global_offset_x
      - .offset:         144
        .size:           8
        .value_kind:     hidden_global_offset_y
      - .offset:         152
        .size:           8
        .value_kind:     hidden_global_offset_z
      - .offset:         160
        .size:           2
        .value_kind:     hidden_grid_dims
    .group_segment_fixed_size: 0
    .kernarg_segment_align: 8
    .kernarg_segment_size: 352
    .language:       OpenCL C
    .language_version:
      - 2
      - 0
    .max_flat_workgroup_size: 64
    .name:           _ZN9rocsolver6v33100L11lasr_kernelIddPdiEEv13rocblas_side_14rocblas_pivot_15rocblas_direct_T2_S6_PT0_lS8_lT1_lS6_lS6_
    .private_segment_fixed_size: 0
    .sgpr_count:     93
    .sgpr_spill_count: 0
    .symbol:         _ZN9rocsolver6v33100L11lasr_kernelIddPdiEEv13rocblas_side_14rocblas_pivot_15rocblas_direct_T2_S6_PT0_lS8_lT1_lS6_lS6_.kd
    .uniform_work_group_size: 1
    .uses_dynamic_stack: false
    .vgpr_count:     46
    .vgpr_spill_count: 0
    .wavefront_size: 32
  - .args:
      - .offset:         0
        .size:           4
        .value_kind:     by_value
      - .address_space:  global
        .offset:         8
        .size:           8
        .value_kind:     global_buffer
      - .offset:         16
        .size:           4
        .value_kind:     by_value
      - .address_space:  global
        .offset:         24
        .size:           8
        .value_kind:     global_buffer
      - .offset:         32
        .size:           4
        .value_kind:     by_value
      - .offset:         40
        .size:           4
        .value_kind:     hidden_block_count_x
      - .offset:         44
        .size:           4
        .value_kind:     hidden_block_count_y
      - .offset:         48
        .size:           4
        .value_kind:     hidden_block_count_z
      - .offset:         52
        .size:           2
        .value_kind:     hidden_group_size_x
      - .offset:         54
        .size:           2
        .value_kind:     hidden_group_size_y
      - .offset:         56
        .size:           2
        .value_kind:     hidden_group_size_z
      - .offset:         58
        .size:           2
        .value_kind:     hidden_remainder_x
      - .offset:         60
        .size:           2
        .value_kind:     hidden_remainder_y
      - .offset:         62
        .size:           2
        .value_kind:     hidden_remainder_z
      - .offset:         80
        .size:           8
        .value_kind:     hidden_global_offset_x
      - .offset:         88
        .size:           8
        .value_kind:     hidden_global_offset_y
      - .offset:         96
        .size:           8
        .value_kind:     hidden_global_offset_z
      - .offset:         104
        .size:           2
        .value_kind:     hidden_grid_dims
    .group_segment_fixed_size: 0
    .kernarg_segment_align: 8
    .kernarg_segment_size: 296
    .language:       OpenCL C
    .language_version:
      - 2
      - 0
    .max_flat_workgroup_size: 1024
    .name:           _ZN9rocsolver6v33100L11swap_kernelIdiEEvT0_PT_S2_S4_S2_
    .private_segment_fixed_size: 0
    .sgpr_count:     18
    .sgpr_spill_count: 0
    .symbol:         _ZN9rocsolver6v33100L11swap_kernelIdiEEvT0_PT_S2_S4_S2_.kd
    .uniform_work_group_size: 1
    .uses_dynamic_stack: false
    .vgpr_count:     12
    .vgpr_spill_count: 0
    .wavefront_size: 32
  - .args:
      - .offset:         0
        .size:           4
        .value_kind:     by_value
      - .address_space:  global
        .offset:         8
        .size:           8
        .value_kind:     global_buffer
      - .offset:         16
        .size:           8
        .value_kind:     by_value
      - .address_space:  global
        .offset:         24
        .size:           8
        .value_kind:     global_buffer
      - .offset:         32
        .size:           8
        .value_kind:     by_value
      - .address_space:  global
        .offset:         40
        .size:           8
        .value_kind:     global_buffer
      - .offset:         48
        .size:           4
        .value_kind:     by_value
      - .offset:         52
        .size:           4
        .value_kind:     by_value
      - .offset:         56
        .size:           8
        .value_kind:     by_value
      - .address_space:  global
        .offset:         64
        .size:           8
        .value_kind:     global_buffer
      - .address_space:  global
        .offset:         72
        .size:           8
        .value_kind:     global_buffer
      - .offset:         80
        .size:           4
        .value_kind:     by_value
      - .offset:         88
        .size:           8
        .value_kind:     by_value
      - .offset:         96
        .size:           8
        .value_kind:     by_value
      - .offset:         104
        .size:           8
        .value_kind:     by_value
      - .offset:         112
        .size:           4
        .value_kind:     hidden_block_count_x
      - .offset:         116
        .size:           4
        .value_kind:     hidden_block_count_y
      - .offset:         120
        .size:           4
        .value_kind:     hidden_block_count_z
      - .offset:         124
        .size:           2
        .value_kind:     hidden_group_size_x
      - .offset:         126
        .size:           2
        .value_kind:     hidden_group_size_y
      - .offset:         128
        .size:           2
        .value_kind:     hidden_group_size_z
      - .offset:         130
        .size:           2
        .value_kind:     hidden_remainder_x
      - .offset:         132
        .size:           2
        .value_kind:     hidden_remainder_y
      - .offset:         134
        .size:           2
        .value_kind:     hidden_remainder_z
      - .offset:         152
        .size:           8
        .value_kind:     hidden_global_offset_x
      - .offset:         160
        .size:           8
        .value_kind:     hidden_global_offset_y
      - .offset:         168
        .size:           8
        .value_kind:     hidden_global_offset_z
      - .offset:         176
        .size:           2
        .value_kind:     hidden_grid_dims
    .group_segment_fixed_size: 48
    .kernarg_segment_align: 8
    .kernarg_segment_size: 368
    .language:       OpenCL C
    .language_version:
      - 2
      - 0
    .max_flat_workgroup_size: 1024
    .name:           _ZN9rocsolver6v33100L12steqr_kernelIddPdEEviPT0_lS4_lT1_iilPiS4_iS3_S3_S3_
    .private_segment_fixed_size: 0
    .sgpr_count:     88
    .sgpr_spill_count: 0
    .symbol:         _ZN9rocsolver6v33100L12steqr_kernelIddPdEEviPT0_lS4_lT1_iilPiS4_iS3_S3_S3_.kd
    .uniform_work_group_size: 1
    .uses_dynamic_stack: false
    .vgpr_count:     72
    .vgpr_spill_count: 0
    .wavefront_size: 32
  - .args:
      - .address_space:  global
        .offset:         0
        .size:           8
        .value_kind:     global_buffer
      - .offset:         8
        .size:           8
        .value_kind:     by_value
      - .offset:         16
        .size:           4
        .value_kind:     by_value
      - .offset:         20
        .size:           4
        .value_kind:     by_value
      - .offset:         24
        .size:           4
        .value_kind:     hidden_block_count_x
      - .offset:         28
        .size:           4
        .value_kind:     hidden_block_count_y
      - .offset:         32
        .size:           4
        .value_kind:     hidden_block_count_z
      - .offset:         36
        .size:           2
        .value_kind:     hidden_group_size_x
      - .offset:         38
        .size:           2
        .value_kind:     hidden_group_size_y
      - .offset:         40
        .size:           2
        .value_kind:     hidden_group_size_z
      - .offset:         42
        .size:           2
        .value_kind:     hidden_remainder_x
      - .offset:         44
        .size:           2
        .value_kind:     hidden_remainder_y
      - .offset:         46
        .size:           2
        .value_kind:     hidden_remainder_z
      - .offset:         64
        .size:           8
        .value_kind:     hidden_global_offset_x
      - .offset:         72
        .size:           8
        .value_kind:     hidden_global_offset_y
      - .offset:         80
        .size:           8
        .value_kind:     hidden_global_offset_z
      - .offset:         88
        .size:           2
        .value_kind:     hidden_grid_dims
    .group_segment_fixed_size: 0
    .kernarg_segment_align: 8
    .kernarg_segment_size: 280
    .language:       OpenCL C
    .language_version:
      - 2
      - 0
    .max_flat_workgroup_size: 1024
    .name:           _ZN9rocsolver6v33100L16reset_batch_infoI19rocblas_complex_numIfEiiPS3_EEvT2_lT0_T1_
    .private_segment_fixed_size: 0
    .sgpr_count:     14
    .sgpr_spill_count: 0
    .symbol:         _ZN9rocsolver6v33100L16reset_batch_infoI19rocblas_complex_numIfEiiPS3_EEvT2_lT0_T1_.kd
    .uniform_work_group_size: 1
    .uses_dynamic_stack: false
    .vgpr_count:     4
    .vgpr_spill_count: 0
    .wavefront_size: 32
  - .args:
      - .offset:         0
        .size:           4
        .value_kind:     by_value
      - .offset:         4
        .size:           4
        .value_kind:     by_value
      - .address_space:  global
        .offset:         8
        .size:           8
        .value_kind:     global_buffer
      - .offset:         16
        .size:           4
        .value_kind:     by_value
      - .offset:         20
        .size:           4
        .value_kind:     by_value
      - .offset:         24
        .size:           8
        .value_kind:     by_value
      - .offset:         32
        .size:           4
        .value_kind:     hidden_block_count_x
      - .offset:         36
        .size:           4
        .value_kind:     hidden_block_count_y
      - .offset:         40
        .size:           4
        .value_kind:     hidden_block_count_z
      - .offset:         44
        .size:           2
        .value_kind:     hidden_group_size_x
      - .offset:         46
        .size:           2
        .value_kind:     hidden_group_size_y
      - .offset:         48
        .size:           2
        .value_kind:     hidden_group_size_z
      - .offset:         50
        .size:           2
        .value_kind:     hidden_remainder_x
      - .offset:         52
        .size:           2
        .value_kind:     hidden_remainder_y
      - .offset:         54
        .size:           2
        .value_kind:     hidden_remainder_z
      - .offset:         72
        .size:           8
        .value_kind:     hidden_global_offset_x
      - .offset:         80
        .size:           8
        .value_kind:     hidden_global_offset_y
      - .offset:         88
        .size:           8
        .value_kind:     hidden_global_offset_z
      - .offset:         96
        .size:           2
        .value_kind:     hidden_grid_dims
    .group_segment_fixed_size: 0
    .kernarg_segment_align: 8
    .kernarg_segment_size: 288
    .language:       OpenCL C
    .language_version:
      - 2
      - 0
    .max_flat_workgroup_size: 1024
    .name:           _ZN9rocsolver6v33100L10init_identI19rocblas_complex_numIfEPS3_EEviiT0_iil
    .private_segment_fixed_size: 0
    .sgpr_count:     13
    .sgpr_spill_count: 0
    .symbol:         _ZN9rocsolver6v33100L10init_identI19rocblas_complex_numIfEPS3_EEviiT0_iil.kd
    .uniform_work_group_size: 1
    .uses_dynamic_stack: false
    .vgpr_count:     4
    .vgpr_spill_count: 0
    .wavefront_size: 32
  - .args:
      - .offset:         0
        .size:           4
        .value_kind:     by_value
      - .offset:         4
        .size:           4
        .value_kind:     by_value
      - .offset:         8
        .size:           4
        .value_kind:     by_value
      - .offset:         12
        .size:           4
        .value_kind:     by_value
      - .offset:         16
        .size:           4
        .value_kind:     by_value
      - .address_space:  global
        .offset:         24
        .size:           8
        .value_kind:     global_buffer
      - .offset:         32
        .size:           8
        .value_kind:     by_value
      - .address_space:  global
        .offset:         40
        .size:           8
        .value_kind:     global_buffer
      - .offset:         48
        .size:           8
        .value_kind:     by_value
      - .address_space:  global
        .offset:         56
        .size:           8
        .value_kind:     global_buffer
      - .offset:         64
        .size:           8
        .value_kind:     by_value
      - .offset:         72
        .size:           4
        .value_kind:     by_value
      - .offset:         80
        .size:           8
        .value_kind:     by_value
      - .offset:         88
        .size:           4
        .value_kind:     by_value
      - .offset:         96
        .size:           4
        .value_kind:     hidden_block_count_x
      - .offset:         100
        .size:           4
        .value_kind:     hidden_block_count_y
      - .offset:         104
        .size:           4
        .value_kind:     hidden_block_count_z
      - .offset:         108
        .size:           2
        .value_kind:     hidden_group_size_x
      - .offset:         110
        .size:           2
        .value_kind:     hidden_group_size_y
      - .offset:         112
        .size:           2
        .value_kind:     hidden_group_size_z
      - .offset:         114
        .size:           2
        .value_kind:     hidden_remainder_x
      - .offset:         116
        .size:           2
        .value_kind:     hidden_remainder_y
      - .offset:         118
        .size:           2
        .value_kind:     hidden_remainder_z
      - .offset:         136
        .size:           8
        .value_kind:     hidden_global_offset_x
      - .offset:         144
        .size:           8
        .value_kind:     hidden_global_offset_y
      - .offset:         152
        .size:           8
        .value_kind:     hidden_global_offset_z
      - .offset:         160
        .size:           2
        .value_kind:     hidden_grid_dims
    .group_segment_fixed_size: 0
    .kernarg_segment_align: 8
    .kernarg_segment_size: 352
    .language:       OpenCL C
    .language_version:
      - 2
      - 0
    .max_flat_workgroup_size: 64
    .name:           _ZN9rocsolver6v33100L11lasr_kernelI19rocblas_complex_numIfEfPS3_iEEv13rocblas_side_14rocblas_pivot_15rocblas_direct_T2_S8_PT0_lSA_lT1_lS8_lS8_
    .private_segment_fixed_size: 0
    .sgpr_count:     93
    .sgpr_spill_count: 0
    .symbol:         _ZN9rocsolver6v33100L11lasr_kernelI19rocblas_complex_numIfEfPS3_iEEv13rocblas_side_14rocblas_pivot_15rocblas_direct_T2_S8_PT0_lSA_lT1_lS8_lS8_.kd
    .uniform_work_group_size: 1
    .uses_dynamic_stack: false
    .vgpr_count:     44
    .vgpr_spill_count: 0
    .wavefront_size: 32
  - .args:
      - .offset:         0
        .size:           4
        .value_kind:     by_value
      - .address_space:  global
        .offset:         8
        .size:           8
        .value_kind:     global_buffer
      - .offset:         16
        .size:           4
        .value_kind:     by_value
      - .address_space:  global
        .offset:         24
        .size:           8
        .value_kind:     global_buffer
      - .offset:         32
        .size:           4
        .value_kind:     by_value
      - .offset:         40
        .size:           4
        .value_kind:     hidden_block_count_x
      - .offset:         44
        .size:           4
        .value_kind:     hidden_block_count_y
      - .offset:         48
        .size:           4
        .value_kind:     hidden_block_count_z
      - .offset:         52
        .size:           2
        .value_kind:     hidden_group_size_x
      - .offset:         54
        .size:           2
        .value_kind:     hidden_group_size_y
      - .offset:         56
        .size:           2
        .value_kind:     hidden_group_size_z
      - .offset:         58
        .size:           2
        .value_kind:     hidden_remainder_x
      - .offset:         60
        .size:           2
        .value_kind:     hidden_remainder_y
      - .offset:         62
        .size:           2
        .value_kind:     hidden_remainder_z
      - .offset:         80
        .size:           8
        .value_kind:     hidden_global_offset_x
      - .offset:         88
        .size:           8
        .value_kind:     hidden_global_offset_y
      - .offset:         96
        .size:           8
        .value_kind:     hidden_global_offset_z
      - .offset:         104
        .size:           2
        .value_kind:     hidden_grid_dims
    .group_segment_fixed_size: 0
    .kernarg_segment_align: 8
    .kernarg_segment_size: 296
    .language:       OpenCL C
    .language_version:
      - 2
      - 0
    .max_flat_workgroup_size: 1024
    .name:           _ZN9rocsolver6v33100L11swap_kernelI19rocblas_complex_numIfEiEEvT0_PT_S4_S6_S4_
    .private_segment_fixed_size: 0
    .sgpr_count:     18
    .sgpr_spill_count: 0
    .symbol:         _ZN9rocsolver6v33100L11swap_kernelI19rocblas_complex_numIfEiEEvT0_PT_S4_S6_S4_.kd
    .uniform_work_group_size: 1
    .uses_dynamic_stack: false
    .vgpr_count:     12
    .vgpr_spill_count: 0
    .wavefront_size: 32
  - .args:
      - .offset:         0
        .size:           4
        .value_kind:     by_value
      - .address_space:  global
        .offset:         8
        .size:           8
        .value_kind:     global_buffer
      - .offset:         16
        .size:           8
        .value_kind:     by_value
      - .address_space:  global
        .offset:         24
        .size:           8
        .value_kind:     global_buffer
      - .offset:         32
        .size:           8
        .value_kind:     by_value
      - .address_space:  global
        .offset:         40
        .size:           8
        .value_kind:     global_buffer
      - .offset:         48
        .size:           4
        .value_kind:     by_value
      - .offset:         52
        .size:           4
        .value_kind:     by_value
      - .offset:         56
        .size:           8
        .value_kind:     by_value
      - .address_space:  global
        .offset:         64
        .size:           8
        .value_kind:     global_buffer
      - .address_space:  global
        .offset:         72
        .size:           8
        .value_kind:     global_buffer
      - .offset:         80
        .size:           4
        .value_kind:     by_value
      - .offset:         84
        .size:           4
        .value_kind:     by_value
      - .offset:         88
        .size:           4
        .value_kind:     by_value
      - .offset:         92
        .size:           4
        .value_kind:     by_value
      - .offset:         96
        .size:           4
        .value_kind:     hidden_block_count_x
      - .offset:         100
        .size:           4
        .value_kind:     hidden_block_count_y
      - .offset:         104
        .size:           4
        .value_kind:     hidden_block_count_z
      - .offset:         108
        .size:           2
        .value_kind:     hidden_group_size_x
      - .offset:         110
        .size:           2
        .value_kind:     hidden_group_size_y
      - .offset:         112
        .size:           2
        .value_kind:     hidden_group_size_z
      - .offset:         114
        .size:           2
        .value_kind:     hidden_remainder_x
      - .offset:         116
        .size:           2
        .value_kind:     hidden_remainder_y
      - .offset:         118
        .size:           2
        .value_kind:     hidden_remainder_z
      - .offset:         136
        .size:           8
        .value_kind:     hidden_global_offset_x
      - .offset:         144
        .size:           8
        .value_kind:     hidden_global_offset_y
      - .offset:         152
        .size:           8
        .value_kind:     hidden_global_offset_z
      - .offset:         160
        .size:           2
        .value_kind:     hidden_grid_dims
    .group_segment_fixed_size: 36
    .kernarg_segment_align: 8
    .kernarg_segment_size: 352
    .language:       OpenCL C
    .language_version:
      - 2
      - 0
    .max_flat_workgroup_size: 1024
    .name:           _ZN9rocsolver6v33100L12steqr_kernelI19rocblas_complex_numIfEfPS3_EEviPT0_lS6_lT1_iilPiS6_iS5_S5_S5_
    .private_segment_fixed_size: 0
    .sgpr_count:     86
    .sgpr_spill_count: 0
    .symbol:         _ZN9rocsolver6v33100L12steqr_kernelI19rocblas_complex_numIfEfPS3_EEviPT0_lS6_lT1_iilPiS6_iS5_S5_S5_.kd
    .uniform_work_group_size: 1
    .uses_dynamic_stack: false
    .vgpr_count:     62
    .vgpr_spill_count: 0
    .wavefront_size: 32
  - .args:
      - .address_space:  global
        .offset:         0
        .size:           8
        .value_kind:     global_buffer
      - .offset:         8
        .size:           8
        .value_kind:     by_value
      - .offset:         16
        .size:           4
        .value_kind:     by_value
      - .offset:         20
        .size:           4
        .value_kind:     by_value
      - .offset:         24
        .size:           4
        .value_kind:     hidden_block_count_x
      - .offset:         28
        .size:           4
        .value_kind:     hidden_block_count_y
      - .offset:         32
        .size:           4
        .value_kind:     hidden_block_count_z
      - .offset:         36
        .size:           2
        .value_kind:     hidden_group_size_x
      - .offset:         38
        .size:           2
        .value_kind:     hidden_group_size_y
      - .offset:         40
        .size:           2
        .value_kind:     hidden_group_size_z
      - .offset:         42
        .size:           2
        .value_kind:     hidden_remainder_x
      - .offset:         44
        .size:           2
        .value_kind:     hidden_remainder_y
      - .offset:         46
        .size:           2
        .value_kind:     hidden_remainder_z
      - .offset:         64
        .size:           8
        .value_kind:     hidden_global_offset_x
      - .offset:         72
        .size:           8
        .value_kind:     hidden_global_offset_y
      - .offset:         80
        .size:           8
        .value_kind:     hidden_global_offset_z
      - .offset:         88
        .size:           2
        .value_kind:     hidden_grid_dims
    .group_segment_fixed_size: 0
    .kernarg_segment_align: 8
    .kernarg_segment_size: 280
    .language:       OpenCL C
    .language_version:
      - 2
      - 0
    .max_flat_workgroup_size: 1024
    .name:           _ZN9rocsolver6v33100L16reset_batch_infoI19rocblas_complex_numIdEiiPS3_EEvT2_lT0_T1_
    .private_segment_fixed_size: 0
    .sgpr_count:     10
    .sgpr_spill_count: 0
    .symbol:         _ZN9rocsolver6v33100L16reset_batch_infoI19rocblas_complex_numIdEiiPS3_EEvT2_lT0_T1_.kd
    .uniform_work_group_size: 1
    .uses_dynamic_stack: false
    .vgpr_count:     6
    .vgpr_spill_count: 0
    .wavefront_size: 32
  - .args:
      - .offset:         0
        .size:           4
        .value_kind:     by_value
      - .offset:         4
        .size:           4
        .value_kind:     by_value
      - .address_space:  global
        .offset:         8
        .size:           8
        .value_kind:     global_buffer
      - .offset:         16
        .size:           4
        .value_kind:     by_value
      - .offset:         20
        .size:           4
        .value_kind:     by_value
      - .offset:         24
        .size:           8
        .value_kind:     by_value
      - .offset:         32
        .size:           4
        .value_kind:     hidden_block_count_x
      - .offset:         36
        .size:           4
        .value_kind:     hidden_block_count_y
      - .offset:         40
        .size:           4
        .value_kind:     hidden_block_count_z
      - .offset:         44
        .size:           2
        .value_kind:     hidden_group_size_x
      - .offset:         46
        .size:           2
        .value_kind:     hidden_group_size_y
      - .offset:         48
        .size:           2
        .value_kind:     hidden_group_size_z
      - .offset:         50
        .size:           2
        .value_kind:     hidden_remainder_x
      - .offset:         52
        .size:           2
        .value_kind:     hidden_remainder_y
      - .offset:         54
        .size:           2
        .value_kind:     hidden_remainder_z
      - .offset:         72
        .size:           8
        .value_kind:     hidden_global_offset_x
      - .offset:         80
        .size:           8
        .value_kind:     hidden_global_offset_y
      - .offset:         88
        .size:           8
        .value_kind:     hidden_global_offset_z
      - .offset:         96
        .size:           2
        .value_kind:     hidden_grid_dims
    .group_segment_fixed_size: 0
    .kernarg_segment_align: 8
    .kernarg_segment_size: 288
    .language:       OpenCL C
    .language_version:
      - 2
      - 0
    .max_flat_workgroup_size: 1024
    .name:           _ZN9rocsolver6v33100L10init_identI19rocblas_complex_numIdEPS3_EEviiT0_iil
    .private_segment_fixed_size: 0
    .sgpr_count:     13
    .sgpr_spill_count: 0
    .symbol:         _ZN9rocsolver6v33100L10init_identI19rocblas_complex_numIdEPS3_EEviiT0_iil.kd
    .uniform_work_group_size: 1
    .uses_dynamic_stack: false
    .vgpr_count:     5
    .vgpr_spill_count: 0
    .wavefront_size: 32
  - .args:
      - .offset:         0
        .size:           4
        .value_kind:     by_value
      - .offset:         4
        .size:           4
        .value_kind:     by_value
      - .offset:         8
        .size:           4
        .value_kind:     by_value
      - .offset:         12
        .size:           4
        .value_kind:     by_value
      - .offset:         16
        .size:           4
        .value_kind:     by_value
      - .address_space:  global
        .offset:         24
        .size:           8
        .value_kind:     global_buffer
      - .offset:         32
        .size:           8
        .value_kind:     by_value
      - .address_space:  global
        .offset:         40
        .size:           8
        .value_kind:     global_buffer
      - .offset:         48
        .size:           8
        .value_kind:     by_value
      - .address_space:  global
        .offset:         56
        .size:           8
        .value_kind:     global_buffer
      - .offset:         64
        .size:           8
        .value_kind:     by_value
      - .offset:         72
        .size:           4
        .value_kind:     by_value
      - .offset:         80
        .size:           8
        .value_kind:     by_value
      - .offset:         88
        .size:           4
        .value_kind:     by_value
      - .offset:         96
        .size:           4
        .value_kind:     hidden_block_count_x
      - .offset:         100
        .size:           4
        .value_kind:     hidden_block_count_y
      - .offset:         104
        .size:           4
        .value_kind:     hidden_block_count_z
      - .offset:         108
        .size:           2
        .value_kind:     hidden_group_size_x
      - .offset:         110
        .size:           2
        .value_kind:     hidden_group_size_y
      - .offset:         112
        .size:           2
        .value_kind:     hidden_group_size_z
      - .offset:         114
        .size:           2
        .value_kind:     hidden_remainder_x
      - .offset:         116
        .size:           2
        .value_kind:     hidden_remainder_y
      - .offset:         118
        .size:           2
        .value_kind:     hidden_remainder_z
      - .offset:         136
        .size:           8
        .value_kind:     hidden_global_offset_x
      - .offset:         144
        .size:           8
        .value_kind:     hidden_global_offset_y
      - .offset:         152
        .size:           8
        .value_kind:     hidden_global_offset_z
      - .offset:         160
        .size:           2
        .value_kind:     hidden_grid_dims
    .group_segment_fixed_size: 0
    .kernarg_segment_align: 8
    .kernarg_segment_size: 352
    .language:       OpenCL C
    .language_version:
      - 2
      - 0
    .max_flat_workgroup_size: 64
    .name:           _ZN9rocsolver6v33100L11lasr_kernelI19rocblas_complex_numIdEdPS3_iEEv13rocblas_side_14rocblas_pivot_15rocblas_direct_T2_S8_PT0_lSA_lT1_lS8_lS8_
    .private_segment_fixed_size: 0
    .sgpr_count:     93
    .sgpr_spill_count: 0
    .symbol:         _ZN9rocsolver6v33100L11lasr_kernelI19rocblas_complex_numIdEdPS3_iEEv13rocblas_side_14rocblas_pivot_15rocblas_direct_T2_S8_PT0_lSA_lT1_lS8_lS8_.kd
    .uniform_work_group_size: 1
    .uses_dynamic_stack: false
    .vgpr_count:     54
    .vgpr_spill_count: 0
    .wavefront_size: 32
  - .args:
      - .offset:         0
        .size:           4
        .value_kind:     by_value
      - .address_space:  global
        .offset:         8
        .size:           8
        .value_kind:     global_buffer
      - .offset:         16
        .size:           4
        .value_kind:     by_value
      - .address_space:  global
        .offset:         24
        .size:           8
        .value_kind:     global_buffer
      - .offset:         32
        .size:           4
        .value_kind:     by_value
      - .offset:         40
        .size:           4
        .value_kind:     hidden_block_count_x
      - .offset:         44
        .size:           4
        .value_kind:     hidden_block_count_y
      - .offset:         48
        .size:           4
        .value_kind:     hidden_block_count_z
      - .offset:         52
        .size:           2
        .value_kind:     hidden_group_size_x
      - .offset:         54
        .size:           2
        .value_kind:     hidden_group_size_y
      - .offset:         56
        .size:           2
        .value_kind:     hidden_group_size_z
      - .offset:         58
        .size:           2
        .value_kind:     hidden_remainder_x
      - .offset:         60
        .size:           2
        .value_kind:     hidden_remainder_y
      - .offset:         62
        .size:           2
        .value_kind:     hidden_remainder_z
      - .offset:         80
        .size:           8
        .value_kind:     hidden_global_offset_x
      - .offset:         88
        .size:           8
        .value_kind:     hidden_global_offset_y
      - .offset:         96
        .size:           8
        .value_kind:     hidden_global_offset_z
      - .offset:         104
        .size:           2
        .value_kind:     hidden_grid_dims
    .group_segment_fixed_size: 32768
    .kernarg_segment_align: 8
    .kernarg_segment_size: 296
    .language:       OpenCL C
    .language_version:
      - 2
      - 0
    .max_flat_workgroup_size: 1024
    .name:           _ZN9rocsolver6v33100L11swap_kernelI19rocblas_complex_numIdEiEEvT0_PT_S4_S6_S4_
    .private_segment_fixed_size: 0
    .sgpr_count:     18
    .sgpr_spill_count: 0
    .symbol:         _ZN9rocsolver6v33100L11swap_kernelI19rocblas_complex_numIdEiEEvT0_PT_S4_S6_S4_.kd
    .uniform_work_group_size: 1
    .uses_dynamic_stack: false
    .vgpr_count:     16
    .vgpr_spill_count: 0
    .wavefront_size: 32
  - .args:
      - .offset:         0
        .size:           4
        .value_kind:     by_value
      - .address_space:  global
        .offset:         8
        .size:           8
        .value_kind:     global_buffer
      - .offset:         16
        .size:           8
        .value_kind:     by_value
      - .address_space:  global
        .offset:         24
        .size:           8
        .value_kind:     global_buffer
      - .offset:         32
        .size:           8
        .value_kind:     by_value
      - .address_space:  global
        .offset:         40
        .size:           8
        .value_kind:     global_buffer
      - .offset:         48
        .size:           4
        .value_kind:     by_value
      - .offset:         52
        .size:           4
        .value_kind:     by_value
      - .offset:         56
        .size:           8
        .value_kind:     by_value
      - .address_space:  global
        .offset:         64
        .size:           8
        .value_kind:     global_buffer
      - .address_space:  global
        .offset:         72
        .size:           8
        .value_kind:     global_buffer
      - .offset:         80
        .size:           4
        .value_kind:     by_value
      - .offset:         88
        .size:           8
        .value_kind:     by_value
      - .offset:         96
        .size:           8
        .value_kind:     by_value
      - .offset:         104
        .size:           8
        .value_kind:     by_value
      - .offset:         112
        .size:           4
        .value_kind:     hidden_block_count_x
      - .offset:         116
        .size:           4
        .value_kind:     hidden_block_count_y
      - .offset:         120
        .size:           4
        .value_kind:     hidden_block_count_z
      - .offset:         124
        .size:           2
        .value_kind:     hidden_group_size_x
      - .offset:         126
        .size:           2
        .value_kind:     hidden_group_size_y
      - .offset:         128
        .size:           2
        .value_kind:     hidden_group_size_z
      - .offset:         130
        .size:           2
        .value_kind:     hidden_remainder_x
      - .offset:         132
        .size:           2
        .value_kind:     hidden_remainder_y
      - .offset:         134
        .size:           2
        .value_kind:     hidden_remainder_z
      - .offset:         152
        .size:           8
        .value_kind:     hidden_global_offset_x
      - .offset:         160
        .size:           8
        .value_kind:     hidden_global_offset_y
      - .offset:         168
        .size:           8
        .value_kind:     hidden_global_offset_z
      - .offset:         176
        .size:           2
        .value_kind:     hidden_grid_dims
    .group_segment_fixed_size: 16432
    .kernarg_segment_align: 8
    .kernarg_segment_size: 368
    .language:       OpenCL C
    .language_version:
      - 2
      - 0
    .max_flat_workgroup_size: 1024
    .name:           _ZN9rocsolver6v33100L12steqr_kernelI19rocblas_complex_numIdEdPS3_EEviPT0_lS6_lT1_iilPiS6_iS5_S5_S5_
    .private_segment_fixed_size: 0
    .sgpr_count:     92
    .sgpr_spill_count: 0
    .symbol:         _ZN9rocsolver6v33100L12steqr_kernelI19rocblas_complex_numIdEdPS3_EEviPT0_lS6_lT1_iilPiS6_iS5_S5_S5_.kd
    .uniform_work_group_size: 1
    .uses_dynamic_stack: false
    .vgpr_count:     74
    .vgpr_spill_count: 0
    .wavefront_size: 32
amdhsa.target:   amdgcn-amd-amdhsa--gfx1250
amdhsa.version:
  - 1
  - 2
...

	.end_amdgpu_metadata
